;; amdgpu-corpus repo=ROCm/rocFFT kind=compiled arch=gfx1201 opt=O3
	.text
	.amdgcn_target "amdgcn-amd-amdhsa--gfx1201"
	.amdhsa_code_object_version 6
	.protected	fft_rtc_back_len1020_factors_2_17_2_3_5_wgs_204_tpt_68_halfLds_half_ip_CI_unitstride_sbrr_C2R_dirReg ; -- Begin function fft_rtc_back_len1020_factors_2_17_2_3_5_wgs_204_tpt_68_halfLds_half_ip_CI_unitstride_sbrr_C2R_dirReg
	.globl	fft_rtc_back_len1020_factors_2_17_2_3_5_wgs_204_tpt_68_halfLds_half_ip_CI_unitstride_sbrr_C2R_dirReg
	.p2align	8
	.type	fft_rtc_back_len1020_factors_2_17_2_3_5_wgs_204_tpt_68_halfLds_half_ip_CI_unitstride_sbrr_C2R_dirReg,@function
fft_rtc_back_len1020_factors_2_17_2_3_5_wgs_204_tpt_68_halfLds_half_ip_CI_unitstride_sbrr_C2R_dirReg: ; @fft_rtc_back_len1020_factors_2_17_2_3_5_wgs_204_tpt_68_halfLds_half_ip_CI_unitstride_sbrr_C2R_dirReg
; %bb.0:
	s_load_b128 s[4:7], s[0:1], 0x0
	v_mul_u32_u24_e32 v1, 0x3c4, v0
	s_clause 0x1
	s_load_b64 s[8:9], s[0:1], 0x50
	s_load_b64 s[10:11], s[0:1], 0x18
	v_mov_b32_e32 v5, 0
	v_lshrrev_b32_e32 v1, 16, v1
	s_delay_alu instid0(VALU_DEP_1) | instskip(SKIP_3) | instid1(VALU_DEP_1)
	v_mad_co_u64_u32 v[1:2], null, ttmp9, 3, v[1:2]
	v_mov_b32_e32 v3, 0
	v_mov_b32_e32 v4, 0
	;; [unrolled: 1-line block ×4, first 2 shown]
	s_wait_kmcnt 0x0
	v_cmp_lt_u64_e64 s2, s[6:7], 2
	v_mov_b32_e32 v9, v1
	s_delay_alu instid0(VALU_DEP_2)
	s_and_b32 vcc_lo, exec_lo, s2
	s_cbranch_vccnz .LBB0_8
; %bb.1:
	s_load_b64 s[2:3], s[0:1], 0x10
	v_dual_mov_b32 v3, 0 :: v_dual_mov_b32 v8, v2
	v_dual_mov_b32 v4, 0 :: v_dual_mov_b32 v7, v1
	s_add_nc_u64 s[12:13], s[10:11], 8
	s_mov_b64 s[14:15], 1
	s_wait_kmcnt 0x0
	s_add_nc_u64 s[16:17], s[2:3], 8
	s_mov_b32 s3, 0
.LBB0_2:                                ; =>This Inner Loop Header: Depth=1
	s_load_b64 s[18:19], s[16:17], 0x0
                                        ; implicit-def: $vgpr9_vgpr10
	s_mov_b32 s2, exec_lo
	s_wait_kmcnt 0x0
	v_or_b32_e32 v6, s19, v8
	s_delay_alu instid0(VALU_DEP_1)
	v_cmpx_ne_u64_e32 0, v[5:6]
	s_wait_alu 0xfffe
	s_xor_b32 s20, exec_lo, s2
	s_cbranch_execz .LBB0_4
; %bb.3:                                ;   in Loop: Header=BB0_2 Depth=1
	s_cvt_f32_u32 s2, s18
	s_cvt_f32_u32 s21, s19
	s_sub_nc_u64 s[24:25], 0, s[18:19]
	s_wait_alu 0xfffe
	s_delay_alu instid0(SALU_CYCLE_1) | instskip(SKIP_1) | instid1(SALU_CYCLE_2)
	s_fmamk_f32 s2, s21, 0x4f800000, s2
	s_wait_alu 0xfffe
	v_s_rcp_f32 s2, s2
	s_delay_alu instid0(TRANS32_DEP_1) | instskip(SKIP_1) | instid1(SALU_CYCLE_2)
	s_mul_f32 s2, s2, 0x5f7ffffc
	s_wait_alu 0xfffe
	s_mul_f32 s21, s2, 0x2f800000
	s_wait_alu 0xfffe
	s_delay_alu instid0(SALU_CYCLE_2) | instskip(SKIP_1) | instid1(SALU_CYCLE_2)
	s_trunc_f32 s21, s21
	s_wait_alu 0xfffe
	s_fmamk_f32 s2, s21, 0xcf800000, s2
	s_cvt_u32_f32 s23, s21
	s_wait_alu 0xfffe
	s_delay_alu instid0(SALU_CYCLE_1) | instskip(SKIP_1) | instid1(SALU_CYCLE_2)
	s_cvt_u32_f32 s22, s2
	s_wait_alu 0xfffe
	s_mul_u64 s[26:27], s[24:25], s[22:23]
	s_wait_alu 0xfffe
	s_mul_hi_u32 s29, s22, s27
	s_mul_i32 s28, s22, s27
	s_mul_hi_u32 s2, s22, s26
	s_mul_i32 s30, s23, s26
	s_wait_alu 0xfffe
	s_add_nc_u64 s[28:29], s[2:3], s[28:29]
	s_mul_hi_u32 s21, s23, s26
	s_mul_hi_u32 s31, s23, s27
	s_add_co_u32 s2, s28, s30
	s_wait_alu 0xfffe
	s_add_co_ci_u32 s2, s29, s21
	s_mul_i32 s26, s23, s27
	s_add_co_ci_u32 s27, s31, 0
	s_wait_alu 0xfffe
	s_add_nc_u64 s[26:27], s[2:3], s[26:27]
	s_wait_alu 0xfffe
	v_add_co_u32 v2, s2, s22, s26
	s_delay_alu instid0(VALU_DEP_1) | instskip(SKIP_1) | instid1(VALU_DEP_1)
	s_cmp_lg_u32 s2, 0
	s_add_co_ci_u32 s23, s23, s27
	v_readfirstlane_b32 s22, v2
	s_wait_alu 0xfffe
	s_delay_alu instid0(VALU_DEP_1)
	s_mul_u64 s[24:25], s[24:25], s[22:23]
	s_wait_alu 0xfffe
	s_mul_hi_u32 s27, s22, s25
	s_mul_i32 s26, s22, s25
	s_mul_hi_u32 s2, s22, s24
	s_mul_i32 s28, s23, s24
	s_wait_alu 0xfffe
	s_add_nc_u64 s[26:27], s[2:3], s[26:27]
	s_mul_hi_u32 s21, s23, s24
	s_mul_hi_u32 s22, s23, s25
	s_wait_alu 0xfffe
	s_add_co_u32 s2, s26, s28
	s_add_co_ci_u32 s2, s27, s21
	s_mul_i32 s24, s23, s25
	s_add_co_ci_u32 s25, s22, 0
	s_wait_alu 0xfffe
	s_add_nc_u64 s[24:25], s[2:3], s[24:25]
	s_wait_alu 0xfffe
	v_add_co_u32 v2, s2, v2, s24
	s_delay_alu instid0(VALU_DEP_1) | instskip(SKIP_1) | instid1(VALU_DEP_1)
	s_cmp_lg_u32 s2, 0
	s_add_co_ci_u32 s2, s23, s25
	v_mul_hi_u32 v6, v7, v2
	s_wait_alu 0xfffe
	v_mad_co_u64_u32 v[9:10], null, v7, s2, 0
	v_mad_co_u64_u32 v[11:12], null, v8, v2, 0
	;; [unrolled: 1-line block ×3, first 2 shown]
	s_delay_alu instid0(VALU_DEP_3) | instskip(SKIP_1) | instid1(VALU_DEP_4)
	v_add_co_u32 v2, vcc_lo, v6, v9
	s_wait_alu 0xfffd
	v_add_co_ci_u32_e32 v6, vcc_lo, 0, v10, vcc_lo
	s_delay_alu instid0(VALU_DEP_2) | instskip(SKIP_1) | instid1(VALU_DEP_2)
	v_add_co_u32 v2, vcc_lo, v2, v11
	s_wait_alu 0xfffd
	v_add_co_ci_u32_e32 v2, vcc_lo, v6, v12, vcc_lo
	s_wait_alu 0xfffd
	v_add_co_ci_u32_e32 v6, vcc_lo, 0, v14, vcc_lo
	s_delay_alu instid0(VALU_DEP_2) | instskip(SKIP_1) | instid1(VALU_DEP_2)
	v_add_co_u32 v2, vcc_lo, v2, v13
	s_wait_alu 0xfffd
	v_add_co_ci_u32_e32 v6, vcc_lo, 0, v6, vcc_lo
	s_delay_alu instid0(VALU_DEP_2) | instskip(SKIP_1) | instid1(VALU_DEP_3)
	v_mul_lo_u32 v11, s19, v2
	v_mad_co_u64_u32 v[9:10], null, s18, v2, 0
	v_mul_lo_u32 v12, s18, v6
	s_delay_alu instid0(VALU_DEP_2) | instskip(NEXT) | instid1(VALU_DEP_2)
	v_sub_co_u32 v9, vcc_lo, v7, v9
	v_add3_u32 v10, v10, v12, v11
	s_delay_alu instid0(VALU_DEP_1) | instskip(SKIP_1) | instid1(VALU_DEP_1)
	v_sub_nc_u32_e32 v11, v8, v10
	s_wait_alu 0xfffd
	v_subrev_co_ci_u32_e64 v11, s2, s19, v11, vcc_lo
	v_add_co_u32 v12, s2, v2, 2
	s_wait_alu 0xf1ff
	v_add_co_ci_u32_e64 v13, s2, 0, v6, s2
	v_sub_co_u32 v14, s2, v9, s18
	v_sub_co_ci_u32_e32 v10, vcc_lo, v8, v10, vcc_lo
	s_wait_alu 0xf1ff
	v_subrev_co_ci_u32_e64 v11, s2, 0, v11, s2
	s_delay_alu instid0(VALU_DEP_3) | instskip(NEXT) | instid1(VALU_DEP_3)
	v_cmp_le_u32_e32 vcc_lo, s18, v14
	v_cmp_eq_u32_e64 s2, s19, v10
	s_wait_alu 0xfffd
	v_cndmask_b32_e64 v14, 0, -1, vcc_lo
	v_cmp_le_u32_e32 vcc_lo, s19, v11
	s_wait_alu 0xfffd
	v_cndmask_b32_e64 v15, 0, -1, vcc_lo
	v_cmp_le_u32_e32 vcc_lo, s18, v9
	;; [unrolled: 3-line block ×3, first 2 shown]
	s_wait_alu 0xfffd
	v_cndmask_b32_e64 v16, 0, -1, vcc_lo
	v_cmp_eq_u32_e32 vcc_lo, s19, v11
	s_wait_alu 0xf1ff
	s_delay_alu instid0(VALU_DEP_2)
	v_cndmask_b32_e64 v9, v16, v9, s2
	s_wait_alu 0xfffd
	v_cndmask_b32_e32 v11, v15, v14, vcc_lo
	v_add_co_u32 v14, vcc_lo, v2, 1
	s_wait_alu 0xfffd
	v_add_co_ci_u32_e32 v15, vcc_lo, 0, v6, vcc_lo
	s_delay_alu instid0(VALU_DEP_3) | instskip(SKIP_1) | instid1(VALU_DEP_2)
	v_cmp_ne_u32_e32 vcc_lo, 0, v11
	s_wait_alu 0xfffd
	v_dual_cndmask_b32 v10, v15, v13 :: v_dual_cndmask_b32 v11, v14, v12
	v_cmp_ne_u32_e32 vcc_lo, 0, v9
	s_wait_alu 0xfffd
	s_delay_alu instid0(VALU_DEP_2) | instskip(NEXT) | instid1(VALU_DEP_3)
	v_cndmask_b32_e32 v10, v6, v10, vcc_lo
	v_cndmask_b32_e32 v9, v2, v11, vcc_lo
.LBB0_4:                                ;   in Loop: Header=BB0_2 Depth=1
	s_wait_alu 0xfffe
	s_and_not1_saveexec_b32 s2, s20
	s_cbranch_execz .LBB0_6
; %bb.5:                                ;   in Loop: Header=BB0_2 Depth=1
	v_cvt_f32_u32_e32 v2, s18
	s_sub_co_i32 s20, 0, s18
	s_delay_alu instid0(VALU_DEP_1) | instskip(NEXT) | instid1(TRANS32_DEP_1)
	v_rcp_iflag_f32_e32 v2, v2
	v_mul_f32_e32 v2, 0x4f7ffffe, v2
	s_delay_alu instid0(VALU_DEP_1) | instskip(SKIP_1) | instid1(VALU_DEP_1)
	v_cvt_u32_f32_e32 v2, v2
	s_wait_alu 0xfffe
	v_mul_lo_u32 v6, s20, v2
	s_delay_alu instid0(VALU_DEP_1) | instskip(NEXT) | instid1(VALU_DEP_1)
	v_mul_hi_u32 v6, v2, v6
	v_add_nc_u32_e32 v2, v2, v6
	s_delay_alu instid0(VALU_DEP_1) | instskip(NEXT) | instid1(VALU_DEP_1)
	v_mul_hi_u32 v2, v7, v2
	v_mul_lo_u32 v6, v2, s18
	v_add_nc_u32_e32 v9, 1, v2
	s_delay_alu instid0(VALU_DEP_2) | instskip(NEXT) | instid1(VALU_DEP_1)
	v_sub_nc_u32_e32 v6, v7, v6
	v_subrev_nc_u32_e32 v10, s18, v6
	v_cmp_le_u32_e32 vcc_lo, s18, v6
	s_wait_alu 0xfffd
	s_delay_alu instid0(VALU_DEP_2) | instskip(SKIP_2) | instid1(VALU_DEP_3)
	v_cndmask_b32_e32 v6, v6, v10, vcc_lo
	v_mov_b32_e32 v10, v5
	v_cndmask_b32_e32 v2, v2, v9, vcc_lo
	v_cmp_le_u32_e32 vcc_lo, s18, v6
	s_delay_alu instid0(VALU_DEP_2) | instskip(SKIP_1) | instid1(VALU_DEP_1)
	v_add_nc_u32_e32 v9, 1, v2
	s_wait_alu 0xfffd
	v_cndmask_b32_e32 v9, v2, v9, vcc_lo
.LBB0_6:                                ;   in Loop: Header=BB0_2 Depth=1
	s_wait_alu 0xfffe
	s_or_b32 exec_lo, exec_lo, s2
	s_load_b64 s[20:21], s[12:13], 0x0
	v_mul_lo_u32 v2, v10, s18
	v_mul_lo_u32 v6, v9, s19
	v_mad_co_u64_u32 v[11:12], null, v9, s18, 0
	s_add_nc_u64 s[14:15], s[14:15], 1
	s_add_nc_u64 s[12:13], s[12:13], 8
	s_wait_alu 0xfffe
	v_cmp_ge_u64_e64 s2, s[14:15], s[6:7]
	s_add_nc_u64 s[16:17], s[16:17], 8
	s_delay_alu instid0(VALU_DEP_2) | instskip(NEXT) | instid1(VALU_DEP_3)
	v_add3_u32 v2, v12, v6, v2
	v_sub_co_u32 v6, vcc_lo, v7, v11
	s_wait_alu 0xfffd
	s_delay_alu instid0(VALU_DEP_2) | instskip(SKIP_3) | instid1(VALU_DEP_2)
	v_sub_co_ci_u32_e32 v2, vcc_lo, v8, v2, vcc_lo
	s_and_b32 vcc_lo, exec_lo, s2
	s_wait_kmcnt 0x0
	v_mul_lo_u32 v7, s21, v6
	v_mul_lo_u32 v2, s20, v2
	v_mad_co_u64_u32 v[3:4], null, s20, v6, v[3:4]
	s_delay_alu instid0(VALU_DEP_1)
	v_add3_u32 v4, v7, v4, v2
	s_wait_alu 0xfffe
	s_cbranch_vccnz .LBB0_8
; %bb.7:                                ;   in Loop: Header=BB0_2 Depth=1
	v_dual_mov_b32 v7, v9 :: v_dual_mov_b32 v8, v10
	s_branch .LBB0_2
.LBB0_8:
	s_lshl_b64 s[2:3], s[6:7], 3
	v_mul_hi_u32 v2, 0xaaaaaaab, v1
	s_wait_alu 0xfffe
	s_add_nc_u64 s[2:3], s[10:11], s[2:3]
	s_load_b64 s[0:1], s[0:1], 0x20
	s_load_b64 s[2:3], s[2:3], 0x0
	v_mul_hi_u32 v5, 0x3c3c3c4, v0
	s_delay_alu instid0(VALU_DEP_2) | instskip(NEXT) | instid1(VALU_DEP_1)
	v_lshrrev_b32_e32 v2, 1, v2
	v_lshl_add_u32 v6, v2, 1, v2
	s_delay_alu instid0(VALU_DEP_1)
	v_sub_nc_u32_e32 v1, v1, v6
	s_wait_kmcnt 0x0
	v_cmp_gt_u64_e32 vcc_lo, s[0:1], v[9:10]
	v_mul_lo_u32 v7, s2, v10
	v_mul_lo_u32 v8, s3, v9
	v_mad_co_u64_u32 v[2:3], null, s2, v9, v[3:4]
	v_mul_u32_u24_e32 v4, 0x44, v5
	v_mul_u32_u24_e32 v6, 0x3fd, v1
	s_delay_alu instid0(VALU_DEP_2) | instskip(NEXT) | instid1(VALU_DEP_4)
	v_sub_nc_u32_e32 v0, v0, v4
	v_add3_u32 v3, v8, v3, v7
	s_delay_alu instid0(VALU_DEP_3) | instskip(NEXT) | instid1(VALU_DEP_2)
	v_lshlrev_b32_e32 v23, 2, v6
	v_lshlrev_b64_e32 v[2:3], 2, v[2:3]
	s_and_saveexec_b32 s1, vcc_lo
	s_cbranch_execz .LBB0_12
; %bb.9:
	v_mov_b32_e32 v1, 0
	s_delay_alu instid0(VALU_DEP_2) | instskip(SKIP_2) | instid1(VALU_DEP_3)
	v_add_co_u32 v4, s0, s8, v2
	s_wait_alu 0xf1ff
	v_add_co_ci_u32_e64 v5, s0, s9, v3, s0
	v_lshlrev_b64_e32 v[7:8], 2, v[0:1]
	v_lshlrev_b32_e32 v1, 2, v0
	s_mov_b32 s2, exec_lo
	s_delay_alu instid0(VALU_DEP_1) | instskip(NEXT) | instid1(VALU_DEP_3)
	v_add3_u32 v1, 0, v23, v1
	v_add_co_u32 v7, s0, v4, v7
	s_wait_alu 0xf1ff
	v_add_co_ci_u32_e64 v8, s0, v5, v8, s0
	s_delay_alu instid0(VALU_DEP_3)
	v_add_nc_u32_e32 v24, 0x800, v1
	v_add_nc_u32_e32 v25, 0xc00, v1
	s_clause 0xe
	global_load_b32 v9, v[7:8], off
	global_load_b32 v10, v[7:8], off offset:272
	global_load_b32 v11, v[7:8], off offset:544
	;; [unrolled: 1-line block ×14, first 2 shown]
	v_add_nc_u32_e32 v8, 0x400, v1
	s_wait_loadcnt 0xd
	ds_store_2addr_b32 v1, v9, v10 offset1:68
	s_wait_loadcnt 0xb
	ds_store_2addr_b32 v1, v11, v12 offset0:136 offset1:204
	s_wait_loadcnt 0x9
	ds_store_2addr_b32 v8, v13, v14 offset0:16 offset1:84
	;; [unrolled: 2-line block ×6, first 2 shown]
	s_wait_loadcnt 0x0
	ds_store_b32 v1, v7 offset:3808
	v_cmpx_eq_u32_e32 0x43, v0
	s_cbranch_execz .LBB0_11
; %bb.10:
	global_load_b32 v4, v[4:5], off offset:4080
	v_mov_b32_e32 v0, 0x43
	s_wait_loadcnt 0x0
	ds_store_b32 v1, v4 offset:3812
.LBB0_11:
	s_wait_alu 0xfffe
	s_or_b32 exec_lo, exec_lo, s2
.LBB0_12:
	s_wait_alu 0xfffe
	s_or_b32 exec_lo, exec_lo, s1
	v_lshl_add_u32 v21, v6, 2, 0
	v_lshlrev_b32_e32 v4, 2, v0
	global_wb scope:SCOPE_SE
	s_wait_dscnt 0x0
	s_barrier_signal -1
	s_barrier_wait -1
	global_inv scope:SCOPE_SE
	v_add_nc_u32_e32 v22, v21, v4
	v_sub_nc_u32_e32 v7, v21, v4
	s_mov_b32 s1, exec_lo
                                        ; implicit-def: $vgpr5_vgpr6
	ds_load_u16 v10, v22
	ds_load_u16 v11, v7 offset:4080
	s_wait_dscnt 0x0
	v_add_f16_e32 v9, v11, v10
	v_sub_f16_e32 v8, v10, v11
	v_cmpx_ne_u32_e32 0, v0
	s_wait_alu 0xfffe
	s_xor_b32 s1, exec_lo, s1
	s_cbranch_execz .LBB0_14
; %bb.13:
	v_mov_b32_e32 v1, 0
	v_add_f16_e32 v9, v11, v10
	v_sub_f16_e32 v10, v10, v11
	s_delay_alu instid0(VALU_DEP_3) | instskip(NEXT) | instid1(VALU_DEP_1)
	v_lshlrev_b64_e32 v[5:6], 2, v[0:1]
	v_add_co_u32 v5, s0, s4, v5
	s_wait_alu 0xf1ff
	s_delay_alu instid0(VALU_DEP_2)
	v_add_co_ci_u32_e64 v6, s0, s5, v6, s0
	global_load_b32 v5, v[5:6], off offset:4072
	ds_load_u16 v6, v7 offset:4082
	ds_load_u16 v8, v22 offset:2
	s_wait_dscnt 0x0
	v_add_f16_e32 v11, v6, v8
	v_sub_f16_e32 v6, v8, v6
	s_wait_loadcnt 0x0
	v_lshrrev_b32_e32 v12, 16, v5
	s_delay_alu instid0(VALU_DEP_1) | instskip(NEXT) | instid1(VALU_DEP_3)
	v_fma_f16 v13, -v10, v12, v9
	v_fma_f16 v14, v11, v12, -v6
	v_fma_f16 v8, v11, v12, v6
	v_fma_f16 v9, v10, v12, v9
	s_delay_alu instid0(VALU_DEP_4) | instskip(NEXT) | instid1(VALU_DEP_4)
	v_fmac_f16_e32 v13, v5, v11
	v_fmac_f16_e32 v14, v10, v5
	s_delay_alu instid0(VALU_DEP_4) | instskip(NEXT) | instid1(VALU_DEP_4)
	v_fmac_f16_e32 v8, v10, v5
	v_fma_f16 v9, -v5, v11, v9
	v_dual_mov_b32 v6, v1 :: v_dual_mov_b32 v5, v0
	s_delay_alu instid0(VALU_DEP_4)
	v_pack_b32_f16 v10, v13, v14
	ds_store_b32 v7, v10 offset:4080
.LBB0_14:
	s_wait_alu 0xfffe
	s_and_not1_saveexec_b32 s0, s1
	s_cbranch_execz .LBB0_16
; %bb.15:
	ds_load_b32 v1, v21 offset:2040
	v_mov_b32_e32 v5, 0
	v_mov_b32_e32 v6, 0
	s_wait_dscnt 0x0
	v_pk_mul_f16 v1, 0xc0004000, v1
	ds_store_b32 v21, v1 offset:2040
.LBB0_16:
	s_wait_alu 0xfffe
	s_or_b32 exec_lo, exec_lo, s0
	v_lshlrev_b64_e32 v[5:6], 2, v[5:6]
	s_add_nc_u64 s[0:1], s[4:5], 0xfe8
	v_perm_b32 v8, v8, v9, 0x5040100
	s_wait_alu 0xfffe
	s_delay_alu instid0(VALU_DEP_2)
	v_add_co_u32 v5, s0, s0, v5
	s_wait_alu 0xf1ff
	v_add_co_ci_u32_e64 v6, s0, s1, v6, s0
	v_cmp_gt_u32_e64 s0, 34, v0
	s_clause 0x5
	global_load_b32 v1, v[5:6], off offset:272
	global_load_b32 v10, v[5:6], off offset:544
	;; [unrolled: 1-line block ×6, first 2 shown]
	ds_store_b32 v22, v8
	ds_load_b32 v8, v22 offset:272
	ds_load_b32 v9, v7 offset:3808
	s_wait_dscnt 0x1
	v_lshrrev_b32_e32 v15, 16, v8
	s_wait_dscnt 0x0
	v_lshrrev_b32_e32 v16, 16, v9
	v_add_f16_e32 v17, v8, v9
	v_sub_f16_e32 v8, v8, v9
	s_delay_alu instid0(VALU_DEP_3) | instskip(SKIP_3) | instid1(VALU_DEP_1)
	v_add_f16_e32 v9, v16, v15
	v_sub_f16_e32 v15, v15, v16
	s_wait_loadcnt 0x5
	v_lshrrev_b32_e32 v18, 16, v1
	v_fma_f16 v16, v8, v18, v17
	s_delay_alu instid0(VALU_DEP_3) | instskip(SKIP_2) | instid1(VALU_DEP_4)
	v_fma_f16 v19, v9, v18, v15
	v_fma_f16 v17, -v8, v18, v17
	v_fma_f16 v15, v9, v18, -v15
	v_fma_f16 v16, -v1, v9, v16
	s_delay_alu instid0(VALU_DEP_4) | instskip(NEXT) | instid1(VALU_DEP_4)
	v_fmac_f16_e32 v19, v8, v1
	v_fmac_f16_e32 v17, v1, v9
	s_delay_alu instid0(VALU_DEP_4) | instskip(NEXT) | instid1(VALU_DEP_3)
	v_fmac_f16_e32 v15, v8, v1
	v_pack_b32_f16 v1, v16, v19
	s_wait_loadcnt 0x4
	v_lshrrev_b32_e32 v16, 16, v10
	s_delay_alu instid0(VALU_DEP_3)
	v_pack_b32_f16 v8, v17, v15
	ds_store_b32 v22, v1 offset:272
	ds_store_b32 v7, v8 offset:3808
	ds_load_b32 v1, v22 offset:544
	ds_load_b32 v8, v7 offset:3536
	s_wait_dscnt 0x1
	v_lshrrev_b32_e32 v9, 16, v1
	s_wait_dscnt 0x0
	v_lshrrev_b32_e32 v15, 16, v8
	v_add_f16_e32 v17, v1, v8
	v_sub_f16_e32 v1, v1, v8
	s_delay_alu instid0(VALU_DEP_3) | instskip(SKIP_1) | instid1(VALU_DEP_3)
	v_add_f16_e32 v8, v15, v9
	v_sub_f16_e32 v9, v9, v15
	v_fma_f16 v15, v1, v16, v17
	v_fma_f16 v17, -v1, v16, v17
	s_delay_alu instid0(VALU_DEP_3) | instskip(SKIP_1) | instid1(VALU_DEP_4)
	v_fma_f16 v18, v8, v16, v9
	v_fma_f16 v9, v8, v16, -v9
	v_fma_f16 v15, -v10, v8, v15
	s_delay_alu instid0(VALU_DEP_4) | instskip(NEXT) | instid1(VALU_DEP_4)
	v_fmac_f16_e32 v17, v10, v8
	v_fmac_f16_e32 v18, v1, v10
	s_delay_alu instid0(VALU_DEP_4) | instskip(NEXT) | instid1(VALU_DEP_2)
	v_fmac_f16_e32 v9, v1, v10
	v_pack_b32_f16 v1, v15, v18
	s_delay_alu instid0(VALU_DEP_2)
	v_pack_b32_f16 v8, v17, v9
	ds_store_b32 v22, v1 offset:544
	ds_store_b32 v7, v8 offset:3536
	ds_load_b32 v1, v22 offset:816
	ds_load_b32 v8, v7 offset:3264
	s_wait_loadcnt 0x3
	v_lshrrev_b32_e32 v15, 16, v11
	s_wait_dscnt 0x1
	v_lshrrev_b32_e32 v9, 16, v1
	s_wait_dscnt 0x0
	v_lshrrev_b32_e32 v10, 16, v8
	v_add_f16_e32 v16, v1, v8
	v_sub_f16_e32 v1, v1, v8
	s_delay_alu instid0(VALU_DEP_3) | instskip(SKIP_1) | instid1(VALU_DEP_3)
	v_add_f16_e32 v8, v10, v9
	v_sub_f16_e32 v9, v9, v10
	v_fma_f16 v10, v1, v15, v16
	v_fma_f16 v16, -v1, v15, v16
	s_delay_alu instid0(VALU_DEP_3) | instskip(SKIP_1) | instid1(VALU_DEP_4)
	v_fma_f16 v17, v8, v15, v9
	v_fma_f16 v9, v8, v15, -v9
	v_fma_f16 v10, -v11, v8, v10
	s_delay_alu instid0(VALU_DEP_4) | instskip(NEXT) | instid1(VALU_DEP_4)
	v_fmac_f16_e32 v16, v11, v8
	v_fmac_f16_e32 v17, v1, v11
	s_delay_alu instid0(VALU_DEP_4) | instskip(SKIP_2) | instid1(VALU_DEP_3)
	v_fmac_f16_e32 v9, v1, v11
	s_wait_loadcnt 0x2
	v_lshrrev_b32_e32 v11, 16, v12
	v_pack_b32_f16 v1, v10, v17
	s_delay_alu instid0(VALU_DEP_3)
	v_pack_b32_f16 v8, v16, v9
	ds_store_b32 v22, v1 offset:816
	ds_store_b32 v7, v8 offset:3264
	ds_load_b32 v1, v22 offset:1088
	ds_load_b32 v8, v7 offset:2992
	s_wait_dscnt 0x1
	v_lshrrev_b32_e32 v9, 16, v1
	s_wait_dscnt 0x0
	v_lshrrev_b32_e32 v10, 16, v8
	v_add_f16_e32 v15, v1, v8
	v_sub_f16_e32 v1, v1, v8
	s_delay_alu instid0(VALU_DEP_3) | instskip(SKIP_1) | instid1(VALU_DEP_3)
	v_add_f16_e32 v8, v10, v9
	v_sub_f16_e32 v9, v9, v10
	v_fma_f16 v10, v1, v11, v15
	v_fma_f16 v15, -v1, v11, v15
	s_delay_alu instid0(VALU_DEP_3) | instskip(SKIP_1) | instid1(VALU_DEP_4)
	v_fma_f16 v16, v8, v11, v9
	v_fma_f16 v9, v8, v11, -v9
	v_fma_f16 v10, -v12, v8, v10
	s_delay_alu instid0(VALU_DEP_4) | instskip(SKIP_4) | instid1(VALU_DEP_2)
	v_fmac_f16_e32 v15, v12, v8
	s_wait_loadcnt 0x1
	v_lshrrev_b32_e32 v11, 16, v13
	v_fmac_f16_e32 v16, v1, v12
	v_fmac_f16_e32 v9, v1, v12
	v_pack_b32_f16 v1, v10, v16
	s_delay_alu instid0(VALU_DEP_2)
	v_pack_b32_f16 v8, v15, v9
	ds_store_b32 v22, v1 offset:1088
	ds_store_b32 v7, v8 offset:2992
	ds_load_b32 v1, v22 offset:1360
	ds_load_b32 v8, v7 offset:2720
	s_wait_dscnt 0x1
	v_lshrrev_b32_e32 v9, 16, v1
	s_wait_dscnt 0x0
	v_lshrrev_b32_e32 v10, 16, v8
	v_add_f16_e32 v12, v1, v8
	v_sub_f16_e32 v1, v1, v8
	s_delay_alu instid0(VALU_DEP_3) | instskip(SKIP_1) | instid1(VALU_DEP_3)
	v_add_f16_e32 v8, v10, v9
	v_sub_f16_e32 v9, v9, v10
	v_fma_f16 v10, v1, v11, v12
	v_fma_f16 v12, -v1, v11, v12
	s_delay_alu instid0(VALU_DEP_3) | instskip(SKIP_1) | instid1(VALU_DEP_4)
	v_fma_f16 v15, v8, v11, v9
	v_fma_f16 v9, v8, v11, -v9
	v_fma_f16 v10, -v13, v8, v10
	s_delay_alu instid0(VALU_DEP_4) | instskip(SKIP_4) | instid1(VALU_DEP_2)
	v_fmac_f16_e32 v12, v13, v8
	s_wait_loadcnt 0x0
	v_lshrrev_b32_e32 v11, 16, v14
	v_fmac_f16_e32 v15, v1, v13
	v_fmac_f16_e32 v9, v1, v13
	v_pack_b32_f16 v1, v10, v15
	s_delay_alu instid0(VALU_DEP_2)
	v_pack_b32_f16 v8, v12, v9
	ds_store_b32 v22, v1 offset:1360
	ds_store_b32 v7, v8 offset:2720
	ds_load_b32 v1, v22 offset:1632
	ds_load_b32 v8, v7 offset:2448
	s_wait_dscnt 0x1
	v_lshrrev_b32_e32 v9, 16, v1
	s_wait_dscnt 0x0
	v_lshrrev_b32_e32 v10, 16, v8
	v_add_f16_e32 v12, v1, v8
	v_sub_f16_e32 v1, v1, v8
	s_delay_alu instid0(VALU_DEP_3) | instskip(SKIP_1) | instid1(VALU_DEP_3)
	v_add_f16_e32 v8, v10, v9
	v_sub_f16_e32 v9, v9, v10
	v_fma_f16 v10, v1, v11, v12
	v_fma_f16 v12, -v1, v11, v12
	s_delay_alu instid0(VALU_DEP_3) | instskip(SKIP_1) | instid1(VALU_DEP_4)
	v_fma_f16 v13, v8, v11, v9
	v_fma_f16 v9, v8, v11, -v9
	v_fma_f16 v10, -v14, v8, v10
	s_delay_alu instid0(VALU_DEP_4) | instskip(NEXT) | instid1(VALU_DEP_4)
	v_fmac_f16_e32 v12, v14, v8
	v_fmac_f16_e32 v13, v1, v14
	s_delay_alu instid0(VALU_DEP_4) | instskip(NEXT) | instid1(VALU_DEP_2)
	v_fmac_f16_e32 v9, v1, v14
	v_pack_b32_f16 v1, v10, v13
	s_delay_alu instid0(VALU_DEP_2)
	v_pack_b32_f16 v8, v12, v9
	ds_store_b32 v22, v1 offset:1632
	ds_store_b32 v7, v8 offset:2448
	s_and_saveexec_b32 s1, s0
	s_cbranch_execz .LBB0_18
; %bb.17:
	global_load_b32 v1, v[5:6], off offset:1904
	ds_load_b32 v5, v22 offset:1904
	ds_load_b32 v6, v7 offset:2176
	s_wait_dscnt 0x1
	v_lshrrev_b32_e32 v8, 16, v5
	s_wait_dscnt 0x0
	v_lshrrev_b32_e32 v9, 16, v6
	v_add_f16_e32 v10, v5, v6
	v_sub_f16_e32 v5, v5, v6
	s_delay_alu instid0(VALU_DEP_3) | instskip(SKIP_3) | instid1(VALU_DEP_1)
	v_add_f16_e32 v6, v9, v8
	v_sub_f16_e32 v8, v8, v9
	s_wait_loadcnt 0x0
	v_lshrrev_b32_e32 v11, 16, v1
	v_fma_f16 v9, v5, v11, v10
	s_delay_alu instid0(VALU_DEP_3) | instskip(SKIP_2) | instid1(VALU_DEP_4)
	v_fma_f16 v12, v6, v11, v8
	v_fma_f16 v10, -v5, v11, v10
	v_fma_f16 v8, v6, v11, -v8
	v_fma_f16 v9, -v1, v6, v9
	s_delay_alu instid0(VALU_DEP_4) | instskip(NEXT) | instid1(VALU_DEP_4)
	v_fmac_f16_e32 v12, v5, v1
	v_fmac_f16_e32 v10, v1, v6
	s_delay_alu instid0(VALU_DEP_4) | instskip(NEXT) | instid1(VALU_DEP_3)
	v_fmac_f16_e32 v8, v5, v1
	v_pack_b32_f16 v1, v9, v12
	s_delay_alu instid0(VALU_DEP_2)
	v_pack_b32_f16 v5, v10, v8
	ds_store_b32 v22, v1 offset:1904
	ds_store_b32 v7, v5 offset:2176
.LBB0_18:
	s_wait_alu 0xfffe
	s_or_b32 exec_lo, exec_lo, s1
	v_lshl_add_u32 v1, v0, 2, 0
	global_wb scope:SCOPE_SE
	s_wait_dscnt 0x0
	s_barrier_signal -1
	s_barrier_wait -1
	global_inv scope:SCOPE_SE
	v_add_nc_u32_e32 v1, v1, v23
	global_wb scope:SCOPE_SE
	s_barrier_signal -1
	s_barrier_wait -1
	global_inv scope:SCOPE_SE
	v_add_nc_u32_e32 v5, 0x400, v1
	v_add_nc_u32_e32 v8, 0x200, v1
	v_add_nc_u32_e32 v9, 0xa00, v1
	v_add_nc_u32_e32 v10, 0xc00, v1
	v_add_nc_u32_e32 v25, 0x44, v0
	ds_load_2addr_b32 v[6:7], v5 offset0:220 offset1:254
	ds_load_2addr_b32 v[32:33], v8 offset0:76 offset1:144
	ds_load_b32 v14, v22
	ds_load_2addr_b32 v[8:9], v9 offset0:74 offset1:142
	ds_load_2addr_b32 v[17:18], v5 offset0:84 offset1:152
	;; [unrolled: 1-line block ×3, first 2 shown]
	ds_load_b32 v5, v1 offset:3944
	v_add_nc_u32_e32 v10, 0x800, v1
	v_add_nc_u32_e32 v24, 0x88, v0
	;; [unrolled: 1-line block ×3, first 2 shown]
	ds_load_2addr_b32 v[34:35], v1 offset0:68 offset1:136
	ds_load_2addr_b32 v[19:20], v10 offset0:66 offset1:134
	v_add_nc_u32_e32 v27, 0x110, v0
	v_add_nc_u32_e32 v29, 0x154, v0
	;; [unrolled: 1-line block ×4, first 2 shown]
	global_wb scope:SCOPE_SE
	s_wait_dscnt 0x0
	s_barrier_signal -1
	v_lshlrev_b32_e32 v36, 3, v29
	v_lshlrev_b32_e32 v37, 3, v30
	s_barrier_wait -1
	global_inv scope:SCOPE_SE
	v_pk_add_f16 v7, v14, v7 neg_lo:[0,1] neg_hi:[0,1]
	v_pk_add_f16 v13, v33, v9 neg_lo:[0,1] neg_hi:[0,1]
	;; [unrolled: 1-line block ×6, first 2 shown]
	v_pk_fma_f16 v31, v14, 2.0, v7 op_sel_hi:[1,0,1] neg_lo:[0,0,1] neg_hi:[0,0,1]
	v_lshlrev_b32_e32 v8, 3, v25
	v_pk_fma_f16 v14, v17, 2.0, v11 op_sel_hi:[1,0,1] neg_lo:[0,0,1] neg_hi:[0,0,1]
	v_pk_fma_f16 v12, v18, 2.0, v9 op_sel_hi:[1,0,1] neg_lo:[0,0,1] neg_hi:[0,0,1]
	v_pk_add_f16 v17, v34, v19 neg_lo:[0,1] neg_hi:[0,1]
	v_lshlrev_b32_e32 v18, 3, v24
	v_pk_add_f16 v19, v35, v20 neg_lo:[0,1] neg_hi:[0,1]
	v_pk_fma_f16 v10, v6, 2.0, v5 op_sel_hi:[1,0,1] neg_lo:[0,0,1] neg_hi:[0,0,1]
	v_lshlrev_b32_e32 v6, 3, v0
	v_lshlrev_b32_e32 v20, 3, v26
	v_pk_fma_f16 v16, v33, 2.0, v13 op_sel_hi:[1,0,1] neg_lo:[0,0,1] neg_hi:[0,0,1]
	v_add3_u32 v33, 0, v8, v23
	v_pk_fma_f16 v8, v34, 2.0, v17 op_sel_hi:[1,0,1] neg_lo:[0,0,1] neg_hi:[0,0,1]
	v_add3_u32 v34, 0, v18, v23
	v_pk_fma_f16 v18, v35, 2.0, v19 op_sel_hi:[1,0,1] neg_lo:[0,0,1] neg_hi:[0,0,1]
	v_lshlrev_b32_e32 v35, 3, v27
	v_add3_u32 v6, 0, v6, v23
	v_add3_u32 v38, 0, v20, v23
	v_pk_fma_f16 v20, v32, 2.0, v15 op_sel_hi:[1,0,1] neg_lo:[0,0,1] neg_hi:[0,0,1]
	s_delay_alu instid0(VALU_DEP_4)
	v_add3_u32 v32, 0, v35, v23
	v_add3_u32 v35, 0, v36, v23
	;; [unrolled: 1-line block ×3, first 2 shown]
	ds_store_2addr_b32 v6, v31, v7 offset1:1
	ds_store_2addr_b32 v33, v8, v17 offset1:1
	;; [unrolled: 1-line block ×7, first 2 shown]
	s_and_saveexec_b32 s1, s0
	s_cbranch_execz .LBB0_20
; %bb.19:
	v_lshlrev_b32_e32 v6, 3, v28
	s_delay_alu instid0(VALU_DEP_1)
	v_add3_u32 v6, 0, v6, v23
	ds_store_2addr_b32 v6, v10, v5 offset1:1
.LBB0_20:
	s_wait_alu 0xfffe
	s_or_b32 exec_lo, exec_lo, s1
	v_cmp_gt_u32_e64 s1, 60, v0
	v_lshrrev_b32_e32 v34, 16, v7
	v_lshrrev_b32_e32 v35, 16, v8
	;; [unrolled: 1-line block ×6, first 2 shown]
	global_wb scope:SCOPE_SE
	s_wait_dscnt 0x0
	s_barrier_signal -1
	s_barrier_wait -1
	global_inv scope:SCOPE_SE
                                        ; implicit-def: $vgpr33
	s_and_saveexec_b32 s2, s1
	s_cbranch_execz .LBB0_22
; %bb.21:
	ds_load_2addr_b32 v[7:8], v1 offset0:60 offset1:120
	v_add_nc_u32_e32 v9, 0xc00, v1
	ds_load_2addr_b32 v[17:18], v1 offset0:180 offset1:240
	v_add_nc_u32_e32 v10, 0x400, v1
	v_add_nc_u32_e32 v11, 0x800, v1
	ds_load_2addr_b32 v[5:6], v9 offset0:132 offset1:192
	ds_load_2addr_b32 v[19:20], v10 offset0:44 offset1:104
	ds_load_b32 v31, v22
	ds_load_2addr_b32 v[15:16], v10 offset0:164 offset1:224
	ds_load_2addr_b32 v[13:14], v11 offset0:28 offset1:88
	;; [unrolled: 1-line block ×4, first 2 shown]
	s_wait_dscnt 0x8
	v_lshrrev_b32_e32 v34, 16, v7
	v_lshrrev_b32_e32 v35, 16, v8
	s_wait_dscnt 0x7
	v_lshrrev_b32_e32 v50, 16, v17
	v_lshrrev_b32_e32 v52, 16, v18
	s_wait_dscnt 0x6
	v_lshrrev_b32_e32 v33, 16, v6
	s_wait_dscnt 0x5
	v_lshrrev_b32_e32 v54, 16, v19
	v_lshrrev_b32_e32 v55, 16, v20
.LBB0_22:
	s_wait_alu 0xfffe
	s_or_b32 exec_lo, exec_lo, s2
	v_and_b32_e32 v32, 1, v0
	s_wait_dscnt 0x1
	v_lshrrev_b32_e32 v80, 16, v11
	v_lshrrev_b32_e32 v81, 16, v12
	;; [unrolled: 1-line block ×4, first 2 shown]
	v_lshlrev_b32_e32 v36, 6, v32
	v_lshrrev_b32_e32 v77, 16, v16
	v_lshrrev_b32_e32 v79, 16, v14
	s_wait_dscnt 0x0
	v_lshrrev_b32_e32 v82, 16, v9
	v_lshrrev_b32_e32 v83, 16, v10
	s_clause 0x3
	global_load_b128 v[58:61], v36, s[4:5]
	global_load_b128 v[64:67], v36, s[4:5] offset:16
	global_load_b128 v[68:71], v36, s[4:5] offset:32
	;; [unrolled: 1-line block ×3, first 2 shown]
	v_lshrrev_b32_e32 v78, 16, v13
	v_lshrrev_b32_e32 v37, 16, v31
	global_wb scope:SCOPE_SE
	s_wait_loadcnt 0x0
	s_barrier_signal -1
	s_barrier_wait -1
	global_inv scope:SCOPE_SE
	v_lshrrev_b32_e32 v36, 16, v58
	v_lshrrev_b32_e32 v38, 16, v59
	;; [unrolled: 1-line block ×10, first 2 shown]
	v_mul_f16_e32 v56, v34, v36
	v_mul_f16_e32 v90, v7, v36
	;; [unrolled: 1-line block ×4, first 2 shown]
	v_lshrrev_b32_e32 v40, 16, v61
	v_lshrrev_b32_e32 v44, 16, v67
	;; [unrolled: 1-line block ×5, first 2 shown]
	v_mul_f16_e32 v53, v35, v38
	v_mul_f16_e32 v91, v8, v38
	;; [unrolled: 1-line block ×14, first 2 shown]
	v_fma_f16 v63, v34, v58, -v90
	v_fmac_f16_e32 v36, v6, v75
	v_fma_f16 v6, v33, v75, -v89
	v_lshrrev_b32_e32 v57, 16, v68
	v_mul_f16_e32 v92, v17, v39
	v_mul_f16_e32 v49, v52, v40
	;; [unrolled: 1-line block ×11, first 2 shown]
	v_fmac_f16_e32 v56, v7, v58
	v_fma_f16 v62, v35, v59, -v91
	v_fmac_f16_e32 v51, v17, v60
	v_fma_f16 v17, v76, v66, -v96
	v_fmac_f16_e32 v42, v11, v70
	v_fmac_f16_e32 v41, v12, v71
	v_fma_f16 v11, v81, v71, -v85
	v_fmac_f16_e32 v38, v5, v74
	v_fma_f16 v5, v84, v74, -v88
	v_add_f16_e32 v76, v63, v6
	v_sub_f16_e32 v71, v63, v6
	v_mul_f16_e32 v44, v78, v57
	v_mul_f16_e32 v98, v13, v57
	;; [unrolled: 1-line block ×3, first 2 shown]
	v_fmac_f16_e32 v53, v8, v59
	v_fma_f16 v60, v50, v60, -v92
	v_fma_f16 v57, v52, v61, -v93
	;; [unrolled: 1-line block ×3, first 2 shown]
	v_fmac_f16_e32 v45, v16, v67
	v_fma_f16 v16, v77, v67, -v97
	v_fmac_f16_e32 v40, v9, v72
	v_fma_f16 v7, v83, v73, -v87
	v_add_f16_e32 v9, v56, v36
	v_sub_f16_e32 v55, v56, v36
	v_add_f16_e32 v77, v62, v5
	v_sub_f16_e32 v67, v62, v5
	v_mul_f16_e32 v96, 0xb964, v71
	v_mul_f16_e32 v103, 0x39e9, v76
	;; [unrolled: 1-line block ×4, first 2 shown]
	v_fmac_f16_e32 v47, v20, v65
	v_fmac_f16_e32 v46, v15, v66
	v_fma_f16 v15, v78, v68, -v98
	v_fma_f16 v8, v82, v72, -v86
	v_fmac_f16_e32 v39, v10, v73
	v_add_f16_e32 v10, v53, v38
	v_sub_f16_e32 v58, v53, v38
	v_add_f16_e32 v78, v60, v7
	v_sub_f16_e32 v66, v60, v7
	v_mul_f16_e32 v95, 0xbbf7, v67
	v_mul_f16_e32 v102, 0x2de8, v77
	v_mul_f16_e32 v111, 0xba62, v67
	v_mul_f16_e32 v120, 0xb8d2, v77
	v_fma_f16 v20, v9, 0x39e9, -v96
	v_fmamk_f16 v33, v55, 0xb964, v103
	v_fma_f16 v34, v9, 0x3722, -v112
	v_fmamk_f16 v35, v55, 0xbb29, v121
	v_fmac_f16_e32 v49, v18, v61
	v_fma_f16 v54, v54, v64, -v94
	v_fmac_f16_e32 v44, v13, v68
	v_fmac_f16_e32 v43, v14, v69
	v_fma_f16 v14, v79, v69, -v99
	v_add_f16_e32 v12, v51, v39
	v_sub_f16_e32 v18, v51, v39
	v_add_f16_e32 v79, v57, v8
	v_sub_f16_e32 v68, v57, v8
	v_mul_f16_e32 v94, 0xba62, v66
	v_mul_f16_e32 v101, 0xb8d2, v78
	;; [unrolled: 1-line block ×4, first 2 shown]
	v_fma_f16 v91, v10, 0x2de8, -v95
	v_fmamk_f16 v107, v58, 0xbbf7, v102
	v_fma_f16 v108, v10, 0xb8d2, -v111
	v_fmamk_f16 v118, v58, 0xba62, v120
	v_add_f16_e32 v20, v31, v20
	v_add_f16_e32 v33, v37, v33
	v_add_f16_e32 v34, v31, v34
	v_add_f16_e32 v35, v37, v35
	v_fmac_f16_e32 v48, v19, v64
	v_fma_f16 v13, v80, v70, -v100
	v_add_f16_e32 v19, v49, v40
	v_sub_f16_e32 v59, v49, v40
	v_add_f16_e32 v80, v54, v11
	v_sub_f16_e32 v70, v54, v11
	v_mul_f16_e32 v92, 0xb1e1, v68
	v_mul_f16_e32 v100, 0xbbdd, v79
	;; [unrolled: 1-line block ×4, first 2 shown]
	v_fma_f16 v122, v12, 0xb8d2, -v94
	v_fmamk_f16 v123, v18, 0xba62, v101
	v_fma_f16 v124, v12, 0xbbdd, -v110
	v_fmamk_f16 v125, v18, 0x31e1, v119
	v_add_f16_e32 v20, v91, v20
	v_add_f16_e32 v33, v107, v33
	;; [unrolled: 1-line block ×5, first 2 shown]
	v_sub_f16_e32 v64, v48, v41
	v_add_f16_e32 v82, v52, v13
	v_sub_f16_e32 v72, v52, v13
	v_mul_f16_e32 v89, 0x3836, v70
	v_mul_f16_e32 v99, 0xbacd, v80
	;; [unrolled: 1-line block ×4, first 2 shown]
	v_fma_f16 v126, v19, 0xbbdd, -v92
	v_fmamk_f16 v127, v59, 0xb1e1, v100
	v_fma_f16 v128, v19, 0xb461, -v109
	v_fma_f16 v129, 0x3bb2, v59, v117
	v_add_f16_e32 v20, v122, v20
	v_add_f16_e32 v33, v123, v33
	;; [unrolled: 1-line block ×5, first 2 shown]
	v_sub_f16_e32 v65, v47, v42
	v_sub_f16_e32 v81, v17, v14
	v_add_f16_e32 v85, v17, v14
	v_mul_f16_e32 v88, 0x3bb2, v72
	v_mul_f16_e32 v98, 0xb461, v82
	;; [unrolled: 1-line block ×4, first 2 shown]
	v_fma_f16 v130, v50, 0xbacd, -v89
	v_fma_f16 v131, 0x3836, v64, v99
	v_fma_f16 v132, v50, 0x39e9, -v106
	v_fma_f16 v133, 0x3964, v64, v116
	v_add_f16_e32 v20, v126, v20
	v_add_f16_e32 v33, v127, v33
	v_add_f16_e64 v34, v128, v34
	v_add_f16_e64 v35, v129, v35
	v_add_f16_e32 v69, v46, v43
	v_sub_f16_e32 v73, v46, v43
	v_sub_f16_e32 v83, v16, v15
	v_add_f16_e32 v84, v16, v15
	v_mul_f16_e32 v87, 0x3b29, v81
	v_mul_f16_e32 v93, 0x3722, v85
	;; [unrolled: 1-line block ×4, first 2 shown]
	v_fma_f16 v134, v61, 0xb461, -v88
	v_fma_f16 v135, 0x3bb2, v65, v98
	v_fma_f16 v136, v61, 0x3b76, -v105
	v_fma_f16 v137, 0xb5c8, v65, v115
	v_add_f16_e64 v20, v130, v20
	v_add_f16_e64 v33, v131, v33
	;; [unrolled: 1-line block ×4, first 2 shown]
	v_add_f16_e32 v74, v45, v44
	v_sub_f16_e32 v75, v45, v44
	v_mul_f16_e32 v86, 0x35c8, v83
	v_mul_f16_e32 v90, 0x3b76, v84
	;; [unrolled: 1-line block ×4, first 2 shown]
	v_fma_f16 v138, v69, 0x3722, -v87
	v_fma_f16 v139, 0x3b29, v73, v93
	v_fma_f16 v140, v69, 0x2de8, -v104
	v_fmamk_f16 v91, v73, 0xbbf7, v114
	v_add_f16_e64 v20, v134, v20
	v_add_f16_e64 v33, v135, v33
	;; [unrolled: 1-line block ×4, first 2 shown]
	v_fma_f16 v107, v74, 0x3b76, -v86
	v_fmamk_f16 v108, v75, 0x35c8, v90
	v_fma_f16 v118, v74, 0xbacd, -v97
	v_fmamk_f16 v122, v75, 0xb836, v113
	v_add_f16_e64 v20, v138, v20
	v_add_f16_e64 v33, v139, v33
	;; [unrolled: 1-line block ×3, first 2 shown]
	v_add_f16_e32 v91, v91, v35
	s_delay_alu instid0(VALU_DEP_4) | instskip(NEXT) | instid1(VALU_DEP_4)
	v_add_f16_e32 v34, v107, v20
	v_add_f16_e32 v35, v108, v33
	s_delay_alu instid0(VALU_DEP_4) | instskip(NEXT) | instid1(VALU_DEP_4)
	v_add_f16_e32 v20, v118, v123
	v_add_f16_e32 v33, v122, v91
	s_and_saveexec_b32 s2, s1
	s_cbranch_execz .LBB0_24
; %bb.23:
	v_mul_f16_e64 v137, 0xbbf7, v55
	v_mul_f16_e64 v134, 0xbbf7, v71
	;; [unrolled: 1-line block ×5, first 2 shown]
	v_fma_f16 v91, 0x2de8, v76, v137
	v_fma_f16 v107, v9, 0x2de8, -v134
	v_mul_f16_e32 v127, 0x3bb2, v66
	v_fma_f16 v108, 0xbbdd, v77, v135
	v_fma_f16 v118, v10, 0xbbdd, -v129
	v_add_f16_e32 v91, v37, v91
	v_add_f16_e32 v107, v31, v107
	v_mul_f16_e64 v141, 0x35c8, v59
	v_mul_f16_e64 v130, 0x35c8, v68
	v_fma_f16 v122, 0xb461, v78, v142
	v_add_f16_e32 v91, v108, v91
	v_fma_f16 v108, v12, 0xb461, -v127
	v_add_f16_e32 v107, v118, v107
	v_mul_f16_e64 v136, 0xbb29, v64
	v_fma_f16 v118, 0x3b76, v79, v141
	v_add_f16_e32 v91, v122, v91
	v_mul_f16_e64 v133, 0xbb29, v70
	v_fma_f16 v122, v19, 0x3b76, -v130
	v_add_f16_e32 v107, v108, v107
	v_fma_f16 v108, 0x3722, v80, v136
	v_add_f16_e32 v91, v118, v91
	v_mul_f16_e64 v138, 0xb836, v65
	v_fma_f16 v118, v50, 0x3722, -v133
	v_add_f16_e32 v107, v122, v107
	v_mul_f16_e64 v131, 0xb836, v72
	v_add_f16_e32 v91, v108, v91
	v_fma_f16 v108, 0xbacd, v82, v138
	v_mul_f16_e64 v139, 0x3a62, v73
	v_add_f16_e32 v107, v118, v107
	v_fma_f16 v118, v61, 0xbacd, -v131
	v_mul_f16_e64 v128, 0x3a62, v81
	v_add_f16_e32 v91, v108, v91
	v_fma_f16 v108, 0xb8d2, v85, v139
	v_mul_f16_e64 v140, 0x3964, v75
	v_add_f16_e32 v107, v118, v107
	v_fma_f16 v118, v69, 0xb8d2, -v128
	v_mul_f16_e64 v153, 0xbbb2, v55
	v_add_f16_e32 v91, v108, v91
	v_fma_f16 v108, 0x39e9, v84, v140
	v_mul_f16_e64 v148, 0x3836, v58
	v_add_f16_e32 v107, v118, v107
	v_fma_f16 v118, 0xb461, v76, v153
	v_mul_f16_e64 v154, 0xbbb2, v71
	v_add_f16_e32 v91, v108, v91
	v_mul_f16_e64 v155, 0x3964, v18
	v_mul_f16_e64 v156, 0x3836, v67
	v_add_f16_e32 v108, v37, v118
	v_fma_f16 v118, 0xbacd, v77, v148
	v_fma_f16 v123, v9, 0xb461, -v154
	v_mul_f16_e64 v157, 0xbb29, v59
	v_fma_f16 v124, v10, 0xbacd, -v156
	v_mul_f16_e64 v158, 0x3964, v66
	v_add_f16_e32 v108, v118, v108
	v_fma_f16 v118, 0x39e9, v78, v155
	v_add_f16_e32 v123, v31, v123
	v_mul_f16_e64 v159, 0xb1e1, v64
	v_mul_f16_e64 v160, 0xbb29, v68
	;; [unrolled: 1-line block ×3, first 2 shown]
	v_add_f16_e32 v108, v118, v108
	v_fma_f16 v118, 0x3722, v79, v157
	v_add_f16_e32 v123, v124, v123
	v_fma_f16 v124, v12, 0x39e9, -v158
	v_mul_f16_e64 v162, 0xb1e1, v70
	v_mul_f16_e64 v149, 0xb5c8, v73
	v_add_f16_e32 v108, v118, v108
	v_fma_f16 v118, 0xbbdd, v80, v159
	v_add_f16_e32 v123, v124, v123
	v_fma_f16 v124, v19, 0x3722, -v160
	v_mul_f16_e64 v152, 0x3bf7, v72
	v_mul_f16_e64 v150, 0xba62, v75
	v_add_f16_e32 v108, v118, v108
	v_fma_f16 v118, 0x2de8, v82, v161
	v_add_f16_e32 v123, v124, v123
	v_fma_f16 v124, v50, 0xbbdd, -v162
	v_mul_f16_e32 v126, 0x3964, v83
	v_mul_f16_e64 v163, 0xb5c8, v81
	v_add_f16_e32 v108, v118, v108
	v_fma_f16 v118, 0x3b76, v85, v149
	v_add_f16_e32 v123, v124, v123
	v_fma_f16 v124, v61, 0x2de8, -v152
	v_mul_f16_e64 v145, 0xba62, v55
	v_fma_f16 v153, v76, 0xb461, -v153
	v_add_f16_e32 v108, v118, v108
	v_fma_f16 v118, 0xb8d2, v84, v150
	v_fmac_f16_e64 v154, 0xb461, v9
	v_fma_f16 v122, v74, 0x39e9, -v126
	v_add_f16_e32 v123, v124, v123
	v_fma_f16 v124, v69, 0x3b76, -v163
	v_add_f16_e32 v108, v118, v108
	v_fma_f16 v118, 0xb8d2, v76, v145
	v_mul_f16_e64 v146, 0x3bb2, v58
	v_mul_f16_e64 v147, 0xba62, v71
	v_add_f16_e64 v153, v37, v153
	v_fma_f16 v148, v77, 0xbacd, -v148
	v_add_f16_e64 v154, v31, v154
	v_fmac_f16_e64 v156, 0xbacd, v10
	v_add_f16_e32 v107, v122, v107
	v_add_f16_e32 v122, v124, v123
	;; [unrolled: 1-line block ×3, first 2 shown]
	v_fma_f16 v123, 0xb461, v77, v146
	v_mul_f16_e64 v164, 0xb5c8, v18
	v_fma_f16 v125, v9, 0xb8d2, -v147
	v_mul_f16_e64 v165, 0x3bb2, v67
	v_add_f16_e64 v148, v148, v153
	v_fma_f16 v153, v78, 0x39e9, -v155
	v_add_f16_e64 v154, v156, v154
	v_fmac_f16_e64 v158, 0x39e9, v12
	v_add_f16_e32 v118, v123, v118
	v_fma_f16 v123, 0x3b76, v78, v164
	v_mul_f16_e64 v166, 0xb836, v59
	v_add_f16_e32 v125, v31, v125
	v_fma_f16 v132, v10, 0xb461, -v165
	v_mul_f16_e64 v167, 0xb5c8, v66
	v_add_f16_e64 v148, v153, v148
	v_fma_f16 v153, v79, 0x3722, -v157
	v_add_f16_e64 v154, v158, v154
	v_fmac_f16_e64 v160, 0x3722, v19
	v_add_f16_e32 v118, v123, v118
	v_fma_f16 v123, 0xbacd, v79, v166
	v_mul_f16_e64 v168, 0x3bf7, v64
	v_add_f16_e64 v125, v132, v125
	v_fma_f16 v132, v12, 0x3b76, -v167
	v_mul_f16_e64 v169, 0xb836, v68
	v_add_f16_e64 v148, v153, v148
	v_fma_f16 v153, v80, 0xbbdd, -v159
	v_add_f16_e64 v154, v160, v154
	v_fmac_f16_e64 v162, 0xbbdd, v50
	v_fma_f16 v137, v76, 0x2de8, -v137
	v_add_f16_e32 v118, v123, v118
	v_fma_f16 v123, 0x2de8, v80, v168
	v_mul_f16_e64 v170, 0xb964, v65
	v_add_f16_e64 v125, v132, v125
	v_fma_f16 v132, v19, 0xbacd, -v169
	v_mul_f16_e64 v171, 0x3bf7, v70
	v_add_f16_e64 v148, v153, v148
	v_fma_f16 v153, v82, 0x2de8, -v161
	v_add_f16_e64 v154, v162, v154
	v_fmac_f16_e64 v152, 0x2de8, v61
	v_add_f16_e64 v137, v37, v137
	v_fma_f16 v135, v77, 0xbbdd, -v135
	v_mul_f16_e64 v151, 0xba62, v83
	v_add_f16_e32 v118, v123, v118
	v_fma_f16 v123, 0x39e9, v82, v170
	v_mul_f16_e64 v172, 0xb1e1, v73
	v_add_f16_e64 v125, v132, v125
	v_fma_f16 v132, v50, 0x2de8, -v171
	v_mul_f16_e64 v173, 0xb964, v72
	v_add_f16_e64 v148, v153, v148
	v_fma_f16 v149, v85, 0x3b76, -v149
	v_add_f16_e64 v152, v152, v154
	v_fmac_f16_e64 v163, 0x3b76, v69
	v_add_f16_e64 v135, v135, v137
	v_fma_f16 v137, v78, 0xb461, -v142
	v_fma_f16 v124, v74, 0xb8d2, -v151
	v_add_f16_e32 v118, v123, v118
	v_fma_f16 v123, 0xbbdd, v85, v172
	v_mul_f16_e64 v174, 0x3b29, v75
	v_add_f16_e64 v125, v132, v125
	v_fma_f16 v132, v61, 0x39e9, -v173
	v_mul_f16_e64 v175, 0xb1e1, v81
	v_add_f16_e64 v148, v149, v148
	v_fma_f16 v149, v84, 0xb8d2, -v150
	v_add_f16_e64 v150, v163, v152
	v_fmac_f16_e64 v151, 0xb8d2, v74
	v_fmac_f16_e64 v134, 0x2de8, v9
	v_add_f16_e64 v135, v137, v135
	v_mul_f16_e64 v137, 0xbb29, v55
	v_add_f16_e32 v123, v123, v118
	v_fma_f16 v143, 0x3722, v84, v174
	v_add_f16_e32 v118, v124, v122
	v_add_f16_e64 v124, v132, v125
	v_fma_f16 v125, v69, 0xbbdd, -v175
	v_mul_f16_e64 v144, 0xb836, v55
	v_add_f16_e64 v148, v149, v148
	v_add_f16_e64 v149, v151, v150
	;; [unrolled: 1-line block ×3, first 2 shown]
	v_fmac_f16_e64 v129, 0xbbdd, v10
	v_mul_f16_e64 v150, 0xba62, v58
	v_sub_f16_e64 v121, v121, v137
	v_add_f16_e64 v122, v143, v123
	v_mul_f16_e64 v177, 0xb836, v71
	v_add_f16_e32 v123, v125, v124
	v_fma_f16 v124, 0xbacd, v76, v144
	v_mul_f16_e64 v178, 0x3b29, v58
	v_fma_f16 v141, v79, 0x3b76, -v141
	v_add_f16_e64 v129, v129, v134
	v_sub_f16_e64 v120, v120, v150
	v_add_f16_e32 v121, v37, v121
	v_mul_f16_e64 v134, 0x31e1, v18
	v_fmac_f16_e32 v127, 0xb461, v12
	v_fma_f16 v132, v9, 0xbacd, -v177
	v_mul_f16_e64 v179, 0x3b29, v67
	v_add_f16_e32 v124, v37, v124
	v_fma_f16 v143, 0x3722, v77, v178
	v_mul_f16_e64 v180, 0xbbf7, v18
	v_add_f16_e64 v135, v141, v135
	v_fma_f16 v136, v80, 0x3722, -v136
	v_add_f16_e32 v120, v120, v121
	v_sub_f16_e64 v119, v119, v134
	v_add_f16_e64 v121, v127, v129
	v_mul_f16_e32 v127, 0x3bb2, v59
	v_fmac_f16_e64 v130, 0x3b76, v19
	v_add_f16_e64 v132, v31, v132
	v_fma_f16 v181, v10, 0x3722, -v179
	v_mul_f16_e64 v182, 0xbbf7, v66
	v_add_f16_e64 v124, v143, v124
	v_fma_f16 v143, 0x2de8, v78, v180
	v_mul_f16_e64 v183, 0x3a62, v59
	v_add_f16_e64 v135, v136, v135
	v_fma_f16 v136, v82, 0xbacd, -v138
	v_add_f16_e32 v119, v119, v120
	v_sub_f16_e32 v117, v117, v127
	v_add_f16_e64 v120, v130, v121
	v_mul_f16_e32 v121, 0x3964, v64
	v_add_f16_e64 v132, v181, v132
	v_fma_f16 v181, v12, 0x2de8, -v182
	v_mul_f16_e64 v184, 0x3a62, v68
	v_add_f16_e64 v124, v143, v124
	v_fma_f16 v143, 0xb8d2, v79, v183
	v_mul_f16_e64 v185, 0xb5c8, v64
	v_add_f16_e64 v129, v136, v135
	v_fma_f16 v134, v85, 0xb8d2, -v139
	v_fmac_f16_e64 v133, 0x3722, v50
	v_add_f16_e32 v117, v117, v119
	v_sub_f16_e32 v116, v116, v121
	v_add_f16_e64 v132, v181, v132
	v_fma_f16 v181, v19, 0xb8d2, -v184
	v_mul_f16_e64 v186, 0xb5c8, v70
	v_add_f16_e64 v124, v143, v124
	v_fma_f16 v143, 0x3b76, v80, v185
	v_mul_f16_e64 v187, 0xb1e1, v65
	v_add_f16_e64 v127, v134, v129
	v_fma_f16 v129, v84, 0x39e9, -v140
	v_add_f16_e64 v119, v133, v120
	v_mul_f16_e32 v120, 0xb5c8, v65
	v_add_f16_e32 v116, v116, v117
	v_mul_f16_e32 v117, 0x3722, v9
	v_add_f16_e64 v132, v181, v132
	v_fma_f16 v181, v50, 0x3b76, -v186
	v_mul_f16_e64 v188, 0xb1e1, v72
	v_add_f16_e64 v124, v143, v124
	v_fma_f16 v143, 0xbbdd, v82, v187
	v_mul_f16_e64 v190, 0xb1e1, v55
	v_add_f16_e64 v121, v129, v127
	v_sub_f16_e32 v115, v115, v120
	v_mul_f16_e32 v120, 0xbbf7, v73
	v_mul_f16_e32 v127, 0xb8d2, v10
	v_add_f16_e32 v112, v117, v112
	v_mul_f16_e64 v176, 0x3b29, v83
	v_add_f16_e64 v132, v181, v132
	v_fma_f16 v181, v61, 0xbbdd, -v188
	v_add_f16_e64 v124, v143, v124
	v_fma_f16 v143, 0xbbdd, v76, v190
	v_mul_f16_e64 v192, 0x35c8, v58
	v_fmac_f16_e64 v131, 0xbacd, v61
	v_add_f16_e32 v115, v115, v116
	v_sub_f16_e32 v114, v114, v120
	v_add_f16_e32 v111, v127, v111
	v_add_f16_e32 v112, v31, v112
	v_mul_f16_e32 v116, 0xbbdd, v12
	v_fma_f16 v125, v74, 0x3722, -v176
	v_mul_f16_e64 v189, 0x3964, v73
	v_mul_f16_e64 v191, 0x3964, v81
	v_add_f16_e64 v132, v181, v132
	v_add_f16_e64 v143, v37, v143
	v_fma_f16 v181, 0x3b76, v77, v192
	v_mul_f16_e64 v195, 0xb836, v18
	v_add_f16_e64 v119, v131, v119
	v_fmac_f16_e64 v128, 0xb8d2, v69
	v_add_f16_e32 v114, v114, v115
	v_add_f16_e32 v111, v111, v112
	;; [unrolled: 1-line block ×3, first 2 shown]
	v_mul_f16_e32 v112, 0xb461, v19
	v_mul_f16_e32 v115, 0xb964, v55
	v_fma_f16 v193, 0x39e9, v85, v189
	v_mul_f16_e64 v194, 0xbbb2, v75
	v_fma_f16 v196, v69, 0x39e9, -v191
	v_add_f16_e32 v123, v125, v123
	v_add_f16_e64 v125, v181, v143
	v_fma_f16 v143, 0xbacd, v78, v195
	v_mul_f16_e64 v181, 0x3964, v59
	v_add_f16_e64 v117, v128, v119
	v_mul_f16_e32 v119, 0xb836, v75
	v_add_f16_e32 v110, v110, v111
	v_add_f16_e32 v109, v112, v109
	v_mul_f16_e32 v111, 0xbbf7, v58
	v_sub_f16_e32 v103, v103, v115
	v_mul_f16_e32 v115, 0x39e9, v50
	v_mul_f16_e64 v197, 0xbbb2, v83
	v_add_f16_e64 v124, v193, v124
	v_fma_f16 v193, 0xb461, v84, v194
	v_add_f16_e64 v132, v196, v132
	v_add_f16_e64 v125, v143, v125
	v_fma_f16 v143, 0x39e9, v79, v181
	v_mul_f16_e64 v196, 0xba62, v64
	v_sub_f16_e32 v113, v113, v119
	v_add_f16_e32 v109, v109, v110
	v_sub_f16_e32 v102, v102, v111
	v_add_f16_e32 v103, v37, v103
	v_add_f16_e32 v106, v115, v106
	v_fma_f16 v198, v74, 0xb461, -v197
	v_add_f16_e64 v124, v193, v124
	v_mul_f16_e64 v193, 0xb1e1, v71
	v_add_f16_e64 v143, v143, v125
	v_fma_f16 v199, 0xb8d2, v80, v196
	v_mul_f16_e64 v200, 0x3b29, v65
	v_mul_f16_e32 v110, 0xba62, v18
	v_add_f16_e32 v111, v113, v114
	v_mul_f16_e32 v113, 0x3b76, v61
	v_add_f16_e32 v102, v102, v103
	v_add_f16_e32 v103, v106, v109
	v_mul_f16_e32 v106, 0xb1e1, v59
	v_mul_f16_e32 v109, 0x39e9, v9
	v_add_f16_e32 v56, v31, v56
	v_add_f16_e64 v125, v198, v132
	v_fma_f16 v132, v9, 0xbbdd, -v193
	v_mul_f16_e64 v198, 0x35c8, v67
	v_add_f16_e64 v143, v199, v143
	v_fma_f16 v199, 0x3722, v82, v200
	v_mul_f16_e64 v201, 0xbbb2, v73
	v_sub_f16_e32 v101, v101, v110
	v_add_f16_e32 v105, v113, v105
	v_sub_f16_e32 v100, v100, v106
	v_mul_f16_e32 v106, 0x2de8, v10
	v_add_f16_e32 v96, v109, v96
	v_add_f16_e32 v53, v56, v53
	v_add_f16_e64 v132, v31, v132
	v_fma_f16 v202, v10, 0x3b76, -v198
	v_mul_f16_e64 v203, 0xb836, v66
	v_add_f16_e64 v143, v199, v143
	v_fma_f16 v199, 0xb461, v85, v201
	v_mul_f16_e64 v204, 0x3bf7, v75
	v_add_f16_e32 v101, v101, v102
	v_add_f16_e32 v103, v105, v103
	v_mul_f16_e32 v105, 0xb8d2, v12
	v_add_f16_e32 v95, v106, v95
	v_add_f16_e32 v96, v31, v96
	v_add_f16_e32 v51, v53, v51
	v_add_f16_e32 v53, v37, v63
	v_add_f16_e64 v132, v202, v132
	v_fma_f16 v202, v12, 0xbacd, -v203
	v_add_f16_e64 v143, v199, v143
	v_fma_f16 v199, 0x2de8, v84, v204
	v_fma_f16 v190, v76, 0xbbdd, -v190
	v_fma_f16 v144, v76, 0xbacd, -v144
	;; [unrolled: 1-line block ×3, first 2 shown]
	v_mul_f16_e32 v102, 0x2de8, v69
	v_add_f16_e32 v100, v100, v101
	v_mul_f16_e32 v101, 0xbbdd, v19
	v_add_f16_e32 v95, v95, v96
	v_add_f16_e32 v94, v105, v94
	v_mul_f16_e32 v105, 0xbacd, v74
	v_mul_f16_e32 v76, 0x3b76, v76
	v_add_f16_e32 v49, v51, v49
	v_add_f16_e32 v51, v53, v62
	v_fmac_f16_e64 v177, 0xbacd, v9
	v_add_f16_e64 v202, v202, v132
	v_add_f16_e64 v132, v199, v143
	;; [unrolled: 1-line block ×3, first 2 shown]
	v_fma_f16 v190, v77, 0x3b76, -v192
	v_add_f16_e64 v144, v37, v144
	v_fma_f16 v178, v77, 0x3722, -v178
	v_add_f16_e64 v145, v37, v145
	v_fma_f16 v146, v77, 0xb461, -v146
	v_add_f16_e32 v102, v102, v104
	v_mul_f16_e32 v104, 0x3836, v64
	v_mul_f16_e32 v109, 0xbacd, v50
	v_add_f16_e32 v94, v94, v95
	v_add_f16_e32 v92, v101, v92
	;; [unrolled: 1-line block ×3, first 2 shown]
	v_fmamk_f16 v97, v55, 0x35c8, v76
	v_mul_f16_e32 v77, 0x39e9, v77
	v_add_f16_e32 v48, v49, v48
	v_add_f16_e32 v49, v51, v60
	v_add_f16_e64 v177, v31, v177
	v_fmac_f16_e64 v179, 0x3722, v10
	v_add_f16_e64 v143, v190, v143
	v_fma_f16 v190, v78, 0xbacd, -v195
	v_add_f16_e64 v178, v178, v144
	v_fma_f16 v180, v78, 0x2de8, -v180
	v_add_f16_e64 v145, v146, v145
	v_fma_f16 v146, v78, 0x3b76, -v164
	v_sub_f16_e32 v99, v99, v104
	v_mul_f16_e32 v104, 0xb461, v61
	v_add_f16_e32 v92, v92, v94
	v_add_f16_e32 v89, v109, v89
	;; [unrolled: 1-line block ×3, first 2 shown]
	v_fmamk_f16 v97, v58, 0x3964, v77
	v_mul_f16_e32 v78, 0x3722, v78
	v_add_f16_e32 v47, v48, v47
	v_add_f16_e32 v48, v49, v57
	v_add_f16_e64 v177, v179, v177
	v_fmac_f16_e64 v182, 0x2de8, v12
	v_add_f16_e64 v143, v190, v143
	v_fma_f16 v181, v79, 0x39e9, -v181
	v_add_f16_e64 v178, v180, v178
	v_fma_f16 v180, v79, 0xb8d2, -v183
	;; [unrolled: 2-line block ×3, first 2 shown]
	v_add_f16_e32 v102, v102, v103
	v_mul_f16_e32 v103, 0x3722, v69
	v_add_f16_e32 v89, v89, v92
	v_add_f16_e32 v88, v104, v88
	;; [unrolled: 1-line block ×3, first 2 shown]
	v_fmamk_f16 v94, v18, 0x3b29, v78
	v_mul_f16_e32 v79, 0x2de8, v79
	v_add_f16_e32 v46, v47, v46
	v_add_f16_e32 v47, v48, v54
	v_add_f16_e64 v177, v182, v177
	v_fmac_f16_e64 v184, 0xb8d2, v19
	v_add_f16_e64 v143, v181, v143
	v_fma_f16 v181, v80, 0xb8d2, -v196
	v_add_f16_e64 v178, v180, v178
	v_fma_f16 v179, v80, 0x3b76, -v185
	;; [unrolled: 2-line block ×3, first 2 shown]
	v_mul_f16_e32 v96, 0x3b76, v74
	v_add_f16_e32 v88, v88, v89
	v_add_f16_e32 v89, v94, v92
	v_fmamk_f16 v92, v59, 0x3bf7, v79
	v_mul_f16_e32 v80, 0xb461, v80
	v_add_f16_e32 v87, v103, v87
	v_add_f16_e32 v45, v46, v45
	;; [unrolled: 1-line block ×3, first 2 shown]
	v_add_f16_e64 v164, v184, v177
	v_fmac_f16_e64 v186, 0x3b76, v50
	v_mul_f16_e64 v205, 0x3964, v68
	v_add_f16_e64 v143, v181, v143
	v_fma_f16 v181, v82, 0x3722, -v200
	v_add_f16_e64 v178, v179, v178
	v_fma_f16 v179, v82, 0xbbdd, -v187
	;; [unrolled: 2-line block ×3, first 2 shown]
	v_add_f16_e32 v89, v92, v89
	v_fmamk_f16 v92, v64, 0x3bb2, v80
	v_add_f16_e32 v87, v87, v88
	v_mul_f16_e32 v82, 0xb8d2, v82
	v_add_f16_e32 v86, v96, v86
	v_mul_f16_e32 v71, 0xb5c8, v71
	v_add_f16_e32 v17, v46, v17
	v_add_f16_e64 v164, v186, v164
	v_fmac_f16_e64 v188, 0xbbdd, v61
	v_fma_f16 v206, v19, 0x39e9, -v205
	v_mul_f16_e64 v207, 0xba62, v70
	v_add_f16_e32 v88, v92, v89
	v_fmamk_f16 v89, v65, 0x3a62, v82
	v_add_f16_e32 v86, v86, v87
	v_fmamk_f16 v87, v9, 0x3b76, v71
	v_mul_f16_e32 v67, 0xb964, v67
	v_add_f16_e32 v16, v17, v16
	v_fmac_f16_e32 v76, 0xb5c8, v55
	v_add_f16_e64 v164, v188, v164
	v_fmac_f16_e64 v191, 0x39e9, v69
	v_fmac_f16_e64 v147, 0xb8d2, v9
	v_add_f16_e64 v192, v206, v202
	v_fma_f16 v199, v50, 0xb8d2, -v207
	v_mul_f16_e64 v202, 0x3b29, v72
	v_fmac_f16_e64 v193, 0xbbdd, v9
	v_add_f16_e32 v56, v89, v88
	v_add_f16_e32 v87, v31, v87
	v_fmamk_f16 v88, v10, 0x39e9, v67
	v_mul_f16_e32 v63, 0xbb29, v66
	v_add_f16_e32 v44, v45, v44
	v_add_f16_e32 v15, v16, v15
	;; [unrolled: 1-line block ×3, first 2 shown]
	v_fmac_f16_e32 v77, 0xb964, v58
	v_fma_f16 v9, v9, 0x3b76, -v71
	v_add_f16_e64 v164, v191, v164
	v_fmac_f16_e64 v197, 0xb461, v74
	v_add_f16_e64 v170, v31, v147
	v_fmac_f16_e64 v165, 0xb461, v10
	v_add_f16_e64 v192, v199, v192
	v_fma_f16 v195, v61, 0x3722, -v202
	v_add_f16_e64 v193, v31, v193
	v_fmac_f16_e64 v198, 0x3b76, v10
	v_add_f16_e32 v87, v88, v87
	v_fmamk_f16 v53, v12, 0x3722, v63
	v_mul_f16_e32 v62, 0xbbf7, v68
	v_add_f16_e32 v43, v44, v43
	v_add_f16_e32 v14, v15, v14
	;; [unrolled: 1-line block ×3, first 2 shown]
	v_fmac_f16_e32 v78, 0xbb29, v18
	v_add_f16_e32 v9, v31, v9
	v_fma_f16 v10, v10, 0x39e9, -v67
	v_add_f16_e64 v147, v197, v164
	v_add_f16_e64 v164, v165, v170
	v_fmac_f16_e64 v167, 0x3b76, v12
	v_add_f16_e64 v190, v195, v192
	v_mul_f16_e64 v192, 0xbbb2, v81
	v_add_f16_e64 v193, v198, v193
	v_fmac_f16_e64 v203, 0xbacd, v12
	v_add_f16_e32 v51, v53, v87
	v_fmamk_f16 v53, v19, 0x2de8, v62
	v_mul_f16_e32 v60, 0xbbb2, v70
	v_add_f16_e32 v42, v43, v42
	v_add_f16_e32 v13, v14, v13
	;; [unrolled: 1-line block ×3, first 2 shown]
	v_fmac_f16_e32 v79, 0xbbf7, v59
	v_add_f16_e32 v9, v10, v9
	v_fma_f16 v10, v12, 0x3722, -v63
	v_add_f16_e64 v164, v167, v164
	v_fmac_f16_e64 v169, 0xbacd, v19
	v_fma_f16 v195, v69, 0xb461, -v192
	v_mul_f16_e64 v196, 0x3bf7, v83
	v_add_f16_e64 v193, v203, v193
	v_fmac_f16_e64 v205, 0x39e9, v19
	v_add_f16_e32 v51, v53, v51
	v_fmamk_f16 v53, v50, 0xb461, v60
	v_mul_f16_e32 v48, 0xba62, v72
	v_add_f16_e32 v37, v42, v41
	v_add_f16_e32 v11, v13, v11
	;; [unrolled: 1-line block ×3, first 2 shown]
	v_fmac_f16_e32 v80, 0xbbb2, v64
	v_add_f16_e32 v9, v10, v9
	v_fma_f16 v10, v19, 0x2de8, -v62
	v_mul_f16_e32 v106, 0x3bb2, v65
	v_add_f16_e64 v164, v169, v164
	v_fmac_f16_e64 v171, 0x2de8, v50
	v_add_f16_e64 v190, v195, v190
	v_fma_f16 v195, v74, 0x2de8, -v196
	v_add_f16_e64 v193, v205, v193
	v_fmac_f16_e64 v207, 0xb8d2, v50
	v_fma_f16 v198, v85, 0xb461, -v201
	v_add_f16_e64 v177, v179, v178
	v_fma_f16 v178, v85, 0x39e9, -v189
	v_fma_f16 v172, v85, 0xbbdd, -v172
	v_mul_f16_e32 v85, 0xbacd, v85
	v_add_f16_e32 v51, v53, v51
	v_fmamk_f16 v47, v61, 0xb8d2, v48
	v_mul_f16_e32 v52, 0xb836, v81
	v_add_f16_e32 v16, v37, v40
	v_add_f16_e32 v8, v11, v8
	;; [unrolled: 1-line block ×3, first 2 shown]
	v_fmac_f16_e32 v82, 0xba62, v65
	v_add_f16_e32 v9, v10, v9
	v_lshrrev_b32_e32 v10, 1, v0
	v_add_f16_e32 v99, v99, v100
	v_mul_f16_e32 v100, 0x3b29, v73
	v_sub_f16_e32 v98, v98, v106
	v_add_f16_e64 v155, v171, v164
	v_fmac_f16_e64 v173, 0x39e9, v61
	v_fma_f16 v13, v50, 0xb461, -v60
	v_add_f16_e64 v181, v181, v143
	v_add_f16_e64 v143, v195, v190
	;; [unrolled: 1-line block ×3, first 2 shown]
	v_fmac_f16_e64 v202, 0x3722, v61
	v_fmamk_f16 v66, v73, 0x3836, v85
	v_mul_f16_e32 v49, 0xbbdd, v84
	v_add_f16_e32 v45, v47, v51
	v_fmamk_f16 v46, v69, 0xbacd, v52
	v_mul_f16_e32 v47, 0xb1e1, v83
	v_add_f16_e32 v12, v16, v39
	v_add_f16_e32 v7, v8, v7
	;; [unrolled: 1-line block ×3, first 2 shown]
	v_fmac_f16_e32 v85, 0xb836, v73
	v_mul_u32_u24_e32 v10, 34, v10
	v_mul_f16_e32 v106, 0x35c8, v75
	v_add_f16_e32 v98, v98, v99
	v_sub_f16_e32 v93, v93, v100
	v_add_f16_e64 v166, v166, v146
	v_add_f16_e64 v155, v173, v155
	v_fmac_f16_e64 v175, 0xbbdd, v69
	v_add_f16_e32 v9, v13, v9
	v_fma_f16 v11, v61, 0xb8d2, -v48
	v_add_f16_e64 v181, v198, v181
	v_fma_f16 v193, v84, 0x2de8, -v204
	v_add_f16_e64 v190, v202, v190
	v_fmac_f16_e64 v192, 0xb461, v69
	v_add_f16_e32 v56, v66, v56
	v_fmamk_f16 v54, v75, 0x31e1, v49
	v_add_f16_e32 v17, v46, v45
	v_fmamk_f16 v44, v74, 0xbbdd, v47
	v_add_f16_e32 v12, v12, v38
	v_add_f16_e32 v5, v7, v5
	;; [unrolled: 1-line block ×3, first 2 shown]
	v_or_b32_e32 v8, v10, v32
	v_add_f16_e32 v93, v93, v98
	v_sub_f16_e32 v90, v90, v106
	v_fmac_f16_e32 v126, 0x39e9, v74
	v_add_f16_e64 v177, v178, v177
	v_fma_f16 v168, v84, 0xb461, -v194
	v_add_f16_e64 v165, v172, v166
	v_fma_f16 v166, v84, 0x3722, -v174
	v_add_f16_e64 v155, v175, v155
	v_fmac_f16_e64 v176, 0x3722, v74
	v_fmac_f16_e32 v49, 0xb1e1, v75
	v_add_f16_e32 v9, v11, v9
	v_fma_f16 v10, v69, 0xbacd, -v52
	v_add_f16_e64 v144, v193, v181
	v_add_f16_e64 v181, v192, v190
	v_fmac_f16_e64 v196, 0x2de8, v74
	v_add_f16_e32 v53, v54, v56
	v_add_f16_e32 v17, v44, v17
	;; [unrolled: 1-line block ×3, first 2 shown]
	v_lshlrev_b32_e32 v8, 2, v8
	v_add_f16_e32 v5, v5, v6
	v_add_f16_e32 v94, v95, v102
	;; [unrolled: 1-line block ×4, first 2 shown]
	v_add_f16_e64 v146, v168, v177
	v_add_f16_e64 v156, v166, v165
	;; [unrolled: 1-line block ×3, first 2 shown]
	v_add_f16_e32 v6, v49, v7
	v_add_f16_e32 v7, v10, v9
	v_fma_f16 v9, v74, 0xbbdd, -v47
	v_add_f16_e64 v145, v196, v181
	v_add3_u32 v8, 0, v8, v23
	v_pack_b32_f16 v5, v11, v5
	v_pack_b32_f16 v10, v17, v53
	;; [unrolled: 1-line block ×8, first 2 shown]
	v_add_f16_e32 v7, v9, v7
	ds_store_2addr_b32 v8, v5, v10 offset1:2
	ds_store_2addr_b32 v8, v11, v12 offset0:4 offset1:6
	ds_store_2addr_b32 v8, v13, v14 offset0:8 offset1:10
	;; [unrolled: 1-line block ×3, first 2 shown]
	v_pack_b32_f16 v5, v145, v144
	v_pack_b32_f16 v9, v143, v132
	;; [unrolled: 1-line block ×6, first 2 shown]
	v_perm_b32 v14, v33, v20, 0x5040100
	v_perm_b32 v15, v35, v34, 0x5040100
	v_pack_b32_f16 v6, v7, v6
	ds_store_2addr_b32 v8, v5, v9 offset0:16 offset1:18
	ds_store_2addr_b32 v8, v10, v11 offset0:20 offset1:22
	;; [unrolled: 1-line block ×4, first 2 shown]
	ds_store_b32 v8, v6 offset:128
.LBB0_24:
	s_wait_alu 0xfffe
	s_or_b32 exec_lo, exec_lo, s2
	v_add_nc_u32_e32 v5, 0x600, v1
	global_wb scope:SCOPE_SE
	s_wait_dscnt 0x0
	s_barrier_signal -1
	s_barrier_wait -1
	global_inv scope:SCOPE_SE
	ds_load_2addr_b32 v[14:15], v5 offset0:126 offset1:194
	v_add_nc_u32_e32 v5, 0x800, v1
	v_add_nc_u32_e32 v6, 0x200, v1
	;; [unrolled: 1-line block ×4, first 2 shown]
	ds_load_2addr_b32 v[8:9], v1 offset0:68 offset1:136
	ds_load_2addr_b32 v[16:17], v5 offset0:134 offset1:202
	;; [unrolled: 1-line block ×5, first 2 shown]
	ds_load_b32 v37, v22
	ds_load_b32 v38, v1 offset:3672
	s_and_saveexec_b32 s1, s0
	s_cbranch_execz .LBB0_26
; %bb.25:
	ds_load_b32 v20, v1 offset:1904
	ds_load_b32 v34, v1 offset:3944
	s_wait_dscnt 0x1
	v_lshrrev_b32_e32 v33, 16, v20
	s_wait_dscnt 0x0
	v_lshrrev_b32_e32 v35, 16, v34
.LBB0_26:
	s_wait_alu 0xfffe
	s_or_b32 exec_lo, exec_lo, s1
	v_and_b32_e32 v40, 0xffff, v30
	v_and_b32_e32 v41, 0xffff, v29
	;; [unrolled: 1-line block ×4, first 2 shown]
	v_dual_mov_b32 v7, 0 :: v_dual_and_b32 v32, 0xff, v24
	v_and_b32_e32 v5, 0xff, v25
	v_mul_u32_u24_e32 v43, 0xf0f1, v40
	v_mul_u32_u24_e32 v41, 0xf0f1, v41
	;; [unrolled: 1-line block ×4, first 2 shown]
	v_mul_lo_u16 v42, 0xf1, v32
	v_mul_lo_u16 v5, 0xf1, v5
	v_lshrrev_b32_e32 v43, 21, v43
	v_lshrrev_b32_e32 v41, 21, v41
	;; [unrolled: 1-line block ×4, first 2 shown]
	v_lshrrev_b16 v42, 13, v42
	v_lshrrev_b16 v5, 13, v5
	v_mul_lo_u16 v48, v43, 34
	v_mul_lo_u16 v49, v41, 34
	v_subrev_nc_u32_e32 v6, 34, v0
	v_mul_lo_u16 v50, v45, 34
	v_mul_lo_u16 v51, v46, 34
	;; [unrolled: 1-line block ×4, first 2 shown]
	v_sub_nc_u16 v30, v30, v48
	v_sub_nc_u16 v29, v29, v49
	v_cndmask_b32_e64 v6, v6, v0, s0
	v_sub_nc_u16 v48, v27, v50
	v_sub_nc_u16 v49, v26, v51
	;; [unrolled: 1-line block ×4, first 2 shown]
	v_and_b32_e32 v30, 0xffff, v30
	v_and_b32_e32 v29, 0xffff, v29
	v_lshlrev_b64_e32 v[39:40], 2, v[6:7]
	v_and_b32_e32 v48, 0xffff, v48
	v_and_b32_e32 v49, 0xffff, v49
	;; [unrolled: 1-line block ×4, first 2 shown]
	v_lshlrev_b32_e32 v30, 2, v30
	v_lshlrev_b32_e32 v29, 2, v29
	;; [unrolled: 1-line block ×3, first 2 shown]
	v_add_co_u32 v39, s1, s4, v39
	v_lshlrev_b32_e32 v49, 2, v49
	v_lshlrev_b32_e32 v47, 2, v47
	s_wait_alu 0xf1ff
	v_add_co_ci_u32_e64 v40, s1, s5, v40, s1
	v_lshlrev_b32_e32 v44, 2, v44
	s_clause 0x6
	global_load_b32 v50, v30, s[4:5] offset:128
	global_load_b32 v51, v29, s[4:5] offset:128
	;; [unrolled: 1-line block ×6, first 2 shown]
	global_load_b32 v39, v[39:40], off offset:128
	v_cmp_lt_u32_e64 s1, 33, v0
	v_lshlrev_b32_e32 v6, 2, v6
	v_and_b32_e32 v56, 0xffff, v5
	v_and_b32_e32 v42, 0xffff, v42
	v_mad_u32_u24 v45, 0x110, v45, 0
	s_wait_alu 0xf1ff
	v_cndmask_b32_e64 v40, 0, 0x110, s1
	v_mad_u32_u24 v41, 0x110, v41, 0
	v_mad_u32_u24 v43, 0x110, v43, 0
	;; [unrolled: 1-line block ×3, first 2 shown]
	v_add3_u32 v45, v45, v48, v23
	v_add_nc_u32_e32 v40, 0, v40
	v_add3_u32 v29, v41, v29, v23
	v_add3_u32 v30, v43, v30, v23
	;; [unrolled: 1-line block ×3, first 2 shown]
	v_lshlrev_b32_e32 v5, 1, v0
	v_add3_u32 v6, v40, v6, v23
	v_mad_u32_u24 v40, 0x110, v46, 0
	v_mad_u32_u24 v46, 0x110, v56, 0
	global_wb scope:SCOPE_SE
	s_wait_loadcnt_dscnt 0x0
	s_barrier_signal -1
	s_barrier_wait -1
	v_add3_u32 v40, v40, v49, v23
	v_add3_u32 v44, v46, v44, v23
	global_inv scope:SCOPE_SE
	v_pk_mul_f16 v41, v50, v38 op_sel:[0,1]
	v_pk_mul_f16 v43, v51, v19 op_sel:[0,1]
	;; [unrolled: 1-line block ×7, first 2 shown]
	v_pk_fma_f16 v57, v50, v38, v41 op_sel:[0,0,1] op_sel_hi:[1,1,0]
	v_pk_fma_f16 v38, v50, v38, v41 op_sel:[0,0,1] op_sel_hi:[1,0,0] neg_lo:[1,0,0] neg_hi:[1,0,0]
	v_pk_fma_f16 v41, v51, v19, v43 op_sel:[0,0,1] op_sel_hi:[1,1,0]
	v_pk_fma_f16 v19, v51, v19, v43 op_sel:[0,0,1] op_sel_hi:[1,0,0] neg_lo:[1,0,0] neg_hi:[1,0,0]
	;; [unrolled: 2-line block ×7, first 2 shown]
	v_bfi_b32 v16, 0xffff, v47, v16
	v_bfi_b32 v17, 0xffff, v46, v17
	;; [unrolled: 1-line block ×7, first 2 shown]
	v_pk_add_f16 v15, v8, v15 neg_lo:[0,1] neg_hi:[0,1]
	v_pk_add_f16 v16, v9, v16 neg_lo:[0,1] neg_hi:[0,1]
	;; [unrolled: 1-line block ×7, first 2 shown]
	v_pk_fma_f16 v37, v37, 2.0, v14 op_sel_hi:[1,0,1] neg_lo:[0,0,1] neg_hi:[0,0,1]
	v_pk_fma_f16 v8, v8, 2.0, v15 op_sel_hi:[1,0,1] neg_lo:[0,0,1] neg_hi:[0,0,1]
	;; [unrolled: 1-line block ×7, first 2 shown]
	ds_store_2addr_b32 v6, v37, v14 offset1:34
	ds_store_2addr_b32 v44, v8, v15 offset1:34
	;; [unrolled: 1-line block ×7, first 2 shown]
	s_and_saveexec_b32 s1, s0
	s_cbranch_execz .LBB0_28
; %bb.27:
	v_and_b32_e32 v6, 0xffff, v28
	s_delay_alu instid0(VALU_DEP_1) | instskip(NEXT) | instid1(VALU_DEP_1)
	v_mul_u32_u24_e32 v6, 0xf0f1, v6
	v_lshrrev_b32_e32 v6, 21, v6
	s_delay_alu instid0(VALU_DEP_1) | instskip(NEXT) | instid1(VALU_DEP_1)
	v_mul_lo_u16 v6, v6, 34
	v_sub_nc_u16 v6, v28, v6
	s_delay_alu instid0(VALU_DEP_1) | instskip(NEXT) | instid1(VALU_DEP_1)
	v_and_b32_e32 v6, 0xffff, v6
	v_lshlrev_b32_e32 v6, 2, v6
	global_load_b32 v8, v6, s[4:5] offset:128
	v_add3_u32 v6, 0, v6, v23
	s_delay_alu instid0(VALU_DEP_1) | instskip(SKIP_2) | instid1(VALU_DEP_1)
	v_add_nc_u32_e32 v6, 0xc00, v6
	s_wait_loadcnt 0x0
	v_lshrrev_b32_e32 v9, 16, v8
	v_mul_f16_e32 v10, v35, v9
	v_mul_f16_e32 v9, v34, v9
	s_delay_alu instid0(VALU_DEP_2) | instskip(NEXT) | instid1(VALU_DEP_2)
	v_fmac_f16_e32 v10, v34, v8
	v_fma_f16 v8, v35, v8, -v9
	s_delay_alu instid0(VALU_DEP_2) | instskip(NEXT) | instid1(VALU_DEP_2)
	v_sub_f16_e32 v9, v20, v10
	v_sub_f16_e32 v8, v33, v8
	s_delay_alu instid0(VALU_DEP_2) | instskip(NEXT) | instid1(VALU_DEP_2)
	v_fma_f16 v10, v20, 2.0, -v9
	v_fma_f16 v11, v33, 2.0, -v8
	v_pack_b32_f16 v8, v9, v8
	s_delay_alu instid0(VALU_DEP_2)
	v_pack_b32_f16 v9, v10, v11
	ds_store_2addr_b32 v6, v9, v8 offset0:184 offset1:218
.LBB0_28:
	s_wait_alu 0xfffe
	s_or_b32 exec_lo, exec_lo, s1
	v_mov_b32_e32 v6, v7
	v_mul_lo_u16 v8, 0x79, v32
	v_lshrrev_b32_e32 v9, 22, v36
	v_lshrrev_b32_e32 v10, 22, v31
	global_wb scope:SCOPE_SE
	s_wait_dscnt 0x0
	v_lshlrev_b64_e32 v[5:6], 2, v[5:6]
	v_lshrrev_b16 v8, 13, v8
	s_barrier_signal -1
	s_barrier_wait -1
	global_inv scope:SCOPE_SE
	v_add_nc_u32_e32 v43, 0xa00, v1
	v_add_co_u32 v5, s0, s4, v5
	s_wait_alu 0xf1ff
	v_add_co_ci_u32_e64 v6, s0, s5, v6, s0
	v_add_nc_u32_e32 v11, 0xc00, v1
	v_add_nc_u32_e32 v44, 0x200, v1
	global_load_b64 v[12:13], v[5:6], off offset:264
	v_mul_lo_u16 v5, 0x44, v8
	v_mul_lo_u16 v6, 0x44, v9
	;; [unrolled: 1-line block ×3, first 2 shown]
	v_add_nc_u32_e32 v9, 0x400, v1
	v_add_nc_u32_e32 v10, 0x600, v1
	v_sub_nc_u16 v5, v24, v5
	v_sub_nc_u16 v6, v26, v6
	;; [unrolled: 1-line block ×3, first 2 shown]
	s_delay_alu instid0(VALU_DEP_3) | instskip(NEXT) | instid1(VALU_DEP_3)
	v_and_b32_e32 v20, 0xff, v5
	v_and_b32_e32 v40, 0xffff, v6
	s_delay_alu instid0(VALU_DEP_3) | instskip(NEXT) | instid1(VALU_DEP_3)
	v_and_b32_e32 v41, 0xffff, v8
	v_lshlrev_b32_e32 v5, 3, v20
	s_delay_alu instid0(VALU_DEP_3) | instskip(NEXT) | instid1(VALU_DEP_3)
	v_lshlrev_b32_e32 v6, 3, v40
	v_lshlrev_b32_e32 v8, 3, v41
	;; [unrolled: 1-line block ×3, first 2 shown]
	s_clause 0x2
	global_load_b64 v[14:15], v5, s[4:5] offset:264
	global_load_b64 v[16:17], v6, s[4:5] offset:264
	;; [unrolled: 1-line block ×3, first 2 shown]
	v_dual_mov_b32 v5, v7 :: v_dual_lshlrev_b32 v6, 2, v25
	v_add_nc_u32_e32 v8, 0x800, v1
	ds_load_b32 v42, v22
	ds_load_2addr_b32 v[26:27], v1 offset0:68 offset1:136
	ds_load_2addr_b32 v[28:29], v43 offset0:108 offset1:176
	;; [unrolled: 1-line block ×4, first 2 shown]
	v_lshlrev_b64_e32 v[34:35], 2, v[6:7]
	v_lshlrev_b32_e32 v6, 2, v24
	ds_load_2addr_b32 v[24:25], v9 offset0:84 offset1:152
	ds_load_2addr_b32 v[36:37], v11 offset0:116 offset1:184
	;; [unrolled: 1-line block ×3, first 2 shown]
	v_lshlrev_b32_e32 v41, 2, v41
	v_lshlrev_b32_e32 v20, 2, v20
	v_add3_u32 v40, 0, v40, v23
	v_lshlrev_b64_e32 v[4:5], 2, v[4:5]
	global_wb scope:SCOPE_SE
	s_wait_loadcnt_dscnt 0x0
	v_add3_u32 v41, 0, v41, v23
	v_add3_u32 v20, 0, v20, v23
	s_barrier_signal -1
	s_barrier_wait -1
	global_inv scope:SCOPE_SE
	v_add_co_u32 v4, s0, s4, v4
	v_lshlrev_b64_e32 v[6:7], 2, v[6:7]
	s_wait_alu 0xf1ff
	v_add_co_ci_u32_e64 v5, s0, s5, v5, s0
	v_lshrrev_b32_e32 v59, 16, v28
	v_lshrrev_b32_e32 v45, 16, v42
	v_lshrrev_b32_e32 v56, 16, v24
	v_lshrrev_b32_e32 v58, 16, v25
	v_lshrrev_b32_e32 v57, 16, v39
	v_lshrrev_b32_e32 v46, 16, v26
	v_lshrrev_b32_e32 v48, 16, v30
	v_lshrrev_b32_e32 v49, 16, v29
	v_lshrrev_b32_e32 v51, 16, v31
	v_lshrrev_b32_e32 v52, 16, v36
	v_lshrrev_b32_e32 v54, 16, v38
	v_lshrrev_b32_e32 v55, 16, v37
	v_lshrrev_b32_e32 v47, 16, v27
	v_lshrrev_b32_e32 v50, 16, v32
	v_lshrrev_b32_e32 v53, 16, v33
	v_add_nc_u32_e32 v63, 0x400, v20
	v_add_nc_u32_e32 v60, 0x800, v40
	v_add_co_u32 v34, s0, s4, v34
	v_add_nc_u32_e32 v62, 0xc00, v41
	s_wait_alu 0xf1ff
	v_add_co_ci_u32_e64 v35, s0, s5, v35, s0
	v_lshrrev_b32_e32 v23, 16, v12
	v_lshrrev_b32_e32 v61, 16, v13
	s_delay_alu instid0(VALU_DEP_2) | instskip(SKIP_1) | instid1(VALU_DEP_3)
	v_mul_f16_e32 v64, v23, v56
	v_mul_f16_e32 v65, v23, v24
	;; [unrolled: 1-line block ×8, first 2 shown]
	v_fmac_f16_e32 v64, v12, v24
	v_fma_f16 v24, v12, v56, -v65
	v_fmac_f16_e32 v66, v13, v39
	v_fma_f16 v39, v13, v57, -v67
	v_fmac_f16_e32 v68, v12, v25
	v_fma_f16 v12, v12, v58, -v23
	v_fmac_f16_e32 v69, v13, v28
	v_fma_f16 v13, v13, v59, -v61
	v_lshrrev_b32_e32 v23, 16, v14
	v_lshrrev_b32_e32 v25, 16, v15
	;; [unrolled: 1-line block ×6, first 2 shown]
	v_add_f16_e32 v61, v64, v66
	v_sub_f16_e32 v65, v24, v39
	v_add_f16_e32 v67, v45, v24
	v_add_f16_e32 v24, v24, v39
	v_sub_f16_e32 v72, v12, v13
	v_add_f16_e32 v73, v46, v12
	v_add_f16_e32 v12, v12, v13
	v_mul_f16_e32 v74, v48, v23
	v_mul_f16_e32 v23, v30, v23
	;; [unrolled: 1-line block ×4, first 2 shown]
	v_add_f16_e32 v59, v42, v64
	v_add_f16_e32 v71, v68, v69
	v_mul_f16_e32 v76, v51, v28
	v_mul_f16_e32 v28, v31, v28
	;; [unrolled: 1-line block ×8, first 2 shown]
	v_sub_f16_e32 v64, v64, v66
	v_add_f16_e32 v70, v26, v68
	v_fmac_f16_e32 v42, -0.5, v61
	v_fmac_f16_e32 v45, -0.5, v24
	;; [unrolled: 1-line block ×3, first 2 shown]
	v_fmac_f16_e32 v74, v30, v14
	v_fma_f16 v12, v48, v14, -v23
	v_fmac_f16_e32 v75, v29, v15
	v_fma_f16 v14, v49, v15, -v25
	v_sub_f16_e32 v68, v68, v69
	v_add_f16_e32 v59, v59, v66
	v_add_f16_e32 v39, v67, v39
	v_fma_f16 v26, -0.5, v71, v26
	v_fmac_f16_e32 v76, v31, v16
	v_fma_f16 v15, v51, v16, -v28
	v_fmac_f16_e32 v77, v36, v17
	v_fma_f16 v16, v52, v17, -v56
	;; [unrolled: 2-line block ×4, first 2 shown]
	v_add_f16_e32 v24, v70, v69
	v_add_f16_e32 v13, v73, v13
	v_fmamk_f16 v19, v65, 0xbaee, v42
	v_fmamk_f16 v23, v64, 0x3aee, v45
	v_add_f16_e32 v30, v74, v75
	v_sub_f16_e32 v31, v12, v14
	v_add_f16_e32 v36, v47, v12
	v_add_f16_e32 v12, v12, v14
	v_fmac_f16_e32 v42, 0x3aee, v65
	v_fmac_f16_e32 v45, 0xbaee, v64
	v_fmamk_f16 v25, v72, 0xbaee, v26
	v_fmamk_f16 v28, v68, 0x3aee, v46
	v_pack_b32_f16 v29, v59, v39
	v_add_f16_e32 v39, v76, v77
	v_sub_f16_e32 v48, v15, v16
	v_add_f16_e32 v49, v50, v15
	v_add_f16_e32 v15, v15, v16
	v_fmac_f16_e32 v26, 0x3aee, v72
	v_fmac_f16_e32 v46, 0xbaee, v68
	v_add_f16_e32 v54, v78, v79
	v_sub_f16_e32 v55, v17, v18
	v_add_f16_e32 v56, v53, v17
	v_add_f16_e32 v17, v17, v18
	v_pack_b32_f16 v13, v24, v13
	v_add_f16_e32 v24, v27, v74
	v_sub_f16_e32 v37, v74, v75
	v_pack_b32_f16 v19, v19, v23
	v_fmac_f16_e32 v27, -0.5, v30
	v_fmac_f16_e32 v47, -0.5, v12
	v_add_f16_e32 v38, v32, v76
	v_sub_f16_e32 v51, v76, v77
	v_pack_b32_f16 v23, v42, v45
	v_pack_b32_f16 v25, v25, v28
	v_fma_f16 v28, -0.5, v39, v32
	v_fmac_f16_e32 v50, -0.5, v15
	v_add_f16_e32 v52, v33, v78
	v_sub_f16_e32 v57, v78, v79
	v_pack_b32_f16 v26, v26, v46
	v_fmac_f16_e32 v33, -0.5, v54
	v_fmac_f16_e32 v53, -0.5, v17
	v_add_f16_e32 v24, v24, v75
	v_add_f16_e32 v14, v36, v14
	ds_store_2addr_b32 v1, v29, v19 offset1:68
	ds_store_2addr_b32 v1, v23, v13 offset0:136 offset1:204
	ds_store_2addr_b32 v9, v25, v26 offset0:16 offset1:84
	v_fmamk_f16 v13, v31, 0xbaee, v27
	v_fmamk_f16 v17, v37, 0x3aee, v47
	v_add_f16_e32 v12, v38, v77
	v_add_f16_e32 v16, v49, v16
	v_fmamk_f16 v19, v48, 0xbaee, v28
	v_fmamk_f16 v23, v51, 0x3aee, v50
	v_add_f16_e32 v15, v52, v79
	v_add_f16_e32 v18, v56, v18
	v_fmamk_f16 v25, v55, 0xbaee, v33
	v_fmamk_f16 v26, v57, 0x3aee, v53
	v_fmac_f16_e32 v27, 0x3aee, v31
	v_fmac_f16_e32 v47, 0xbaee, v37
	;; [unrolled: 1-line block ×6, first 2 shown]
	v_pack_b32_f16 v14, v24, v14
	v_pack_b32_f16 v13, v13, v17
	;; [unrolled: 1-line block ×9, first 2 shown]
	ds_store_2addr_b32 v63, v14, v13 offset0:152 offset1:220
	ds_store_2addr_b32 v60, v12, v17 offset0:100 offset1:168
	;; [unrolled: 1-line block ×3, first 2 shown]
	ds_store_b32 v20, v16 offset:2176
	ds_store_b32 v40, v19 offset:2992
	;; [unrolled: 1-line block ×3, first 2 shown]
	global_wb scope:SCOPE_SE
	s_wait_dscnt 0x0
	s_barrier_signal -1
	s_barrier_wait -1
	global_inv scope:SCOPE_SE
	global_load_b128 v[12:15], v[4:5], off offset:808
	v_add_co_u32 v4, s0, s4, v6
	s_wait_alu 0xf1ff
	v_add_co_ci_u32_e64 v5, s0, s5, v7, s0
	s_clause 0x1
	global_load_b128 v[16:19], v[34:35], off offset:808
	global_load_b128 v[23:26], v[4:5], off offset:808
	ds_load_b32 v6, v22
	ds_load_2addr_b32 v[4:5], v1 offset0:68 offset1:136
	ds_load_2addr_b32 v[27:28], v10 offset0:92 offset1:160
	;; [unrolled: 1-line block ×7, first 2 shown]
	ds_load_u16 v7, v1 offset:1090
	global_wb scope:SCOPE_SE
	s_wait_loadcnt_dscnt 0x0
	s_barrier_signal -1
	s_barrier_wait -1
	global_inv scope:SCOPE_SE
	v_lshrrev_b32_e32 v20, 16, v6
	v_lshrrev_b32_e32 v22, 16, v4
	;; [unrolled: 1-line block ×18, first 2 shown]
	s_delay_alu instid0(VALU_DEP_4)
	v_mul_f16_e32 v63, v51, v47
	v_lshrrev_b32_e32 v55, 16, v16
	v_lshrrev_b32_e32 v56, 16, v17
	;; [unrolled: 1-line block ×8, first 2 shown]
	v_mul_f16_e32 v51, v51, v37
	v_mul_f16_e32 v64, v52, v48
	;; [unrolled: 1-line block ×23, first 2 shown]
	v_fmac_f16_e32 v63, v12, v37
	v_fma_f16 v12, v12, v47, -v51
	v_fmac_f16_e32 v64, v13, v34
	v_fma_f16 v13, v13, v48, -v52
	;; [unrolled: 2-line block ×12, first 2 shown]
	v_add_f16_e32 v27, v64, v65
	v_add_f16_e32 v32, v63, v66
	;; [unrolled: 1-line block ×6, first 2 shown]
	v_sub_f16_e32 v30, v63, v64
	v_sub_f16_e32 v31, v66, v65
	;; [unrolled: 1-line block ×6, first 2 shown]
	v_add_f16_e32 v44, v4, v67
	v_add_f16_e32 v45, v68, v69
	v_sub_f16_e32 v48, v67, v68
	v_sub_f16_e32 v49, v70, v69
	v_add_f16_e32 v53, v22, v7
	v_add_f16_e32 v54, v16, v17
	;; [unrolled: 1-line block ×9, first 2 shown]
	v_sub_f16_e32 v29, v13, v14
	v_sub_f16_e32 v38, v64, v65
	;; [unrolled: 1-line block ×4, first 2 shown]
	v_fma_f16 v27, -0.5, v27, v6
	v_fmac_f16_e32 v6, -0.5, v32
	v_fma_f16 v32, -0.5, v36, v20
	v_fmac_f16_e32 v20, -0.5, v41
	v_sub_f16_e32 v28, v12, v15
	v_sub_f16_e32 v37, v63, v66
	;; [unrolled: 1-line block ×3, first 2 shown]
	v_add_f16_e32 v13, v35, v13
	v_sub_f16_e32 v43, v14, v15
	v_add_f16_e32 v61, v5, v71
	v_sub_f16_e32 v46, v7, v18
	v_sub_f16_e32 v47, v16, v17
	;; [unrolled: 1-line block ×14, first 2 shown]
	v_add_f16_e32 v26, v26, v64
	v_add_f16_e32 v30, v30, v31
	;; [unrolled: 1-line block ×5, first 2 shown]
	v_fma_f16 v35, -0.5, v45, v4
	v_add_f16_e32 v36, v48, v49
	v_add_f16_e32 v16, v53, v16
	v_fma_f16 v40, -0.5, v54, v22
	v_fmac_f16_e32 v22, -0.5, v59
	v_fma_f16 v44, -0.5, v62, v5
	v_add_f16_e32 v23, v80, v23
	v_fma_f16 v49, -0.5, v81, v42
	v_sub_f16_e32 v60, v17, v18
	v_sub_f16_e32 v82, v72, v73
	v_fma_f16 v4, -0.5, v50, v4
	v_fmac_f16_e32 v5, -0.5, v77
	v_fmac_f16_e32 v42, -0.5, v85
	v_add_f16_e32 v39, v51, v52
	v_fmamk_f16 v52, v29, 0x3b9c, v6
	v_fmac_f16_e32 v6, 0xbb9c, v29
	v_fmamk_f16 v53, v38, 0xbb9c, v20
	v_fmac_f16_e32 v20, 0x3b9c, v38
	;; [unrolled: 2-line block ×3, first 2 shown]
	v_add_f16_e32 v13, v13, v14
	v_fmamk_f16 v14, v37, 0x3b9c, v32
	v_fmac_f16_e32 v32, 0xbb9c, v37
	v_add_f16_e32 v12, v12, v43
	v_add_f16_e32 v43, v61, v72
	v_sub_f16_e32 v76, v74, v73
	v_sub_f16_e32 v84, v25, v24
	;; [unrolled: 1-line block ×3, first 2 shown]
	v_add_f16_e32 v41, v57, v58
	v_add_f16_e32 v26, v26, v65
	;; [unrolled: 1-line block ×3, first 2 shown]
	v_fmamk_f16 v54, v46, 0xbb9c, v35
	v_add_f16_e32 v16, v16, v17
	v_fmamk_f16 v17, v55, 0x3b9c, v40
	v_fmamk_f16 v58, v56, 0xbb9c, v22
	v_fmac_f16_e32 v22, 0x3b9c, v56
	v_fmamk_f16 v59, v63, 0xbb9c, v44
	v_add_f16_e32 v23, v23, v24
	v_fmamk_f16 v24, v71, 0x3b9c, v49
	v_sub_f16_e32 v79, v73, v74
	v_add_f16_e32 v7, v7, v60
	v_fmamk_f16 v57, v47, 0x3b9c, v4
	v_fmamk_f16 v60, v67, 0x3b9c, v5
	;; [unrolled: 1-line block ×3, first 2 shown]
	v_fmac_f16_e32 v35, 0x3b9c, v46
	v_fmac_f16_e32 v4, 0xbb9c, v47
	v_fmac_f16_e32 v40, 0xbb9c, v55
	v_fmac_f16_e32 v44, 0x3b9c, v63
	v_fmac_f16_e32 v5, 0xbb9c, v67
	v_fmac_f16_e32 v49, 0xbb9c, v71
	v_fmac_f16_e32 v42, 0x3b9c, v82
	v_fmac_f16_e32 v52, 0xb8b4, v28
	v_fmac_f16_e32 v6, 0x38b4, v28
	v_fmac_f16_e32 v53, 0x38b4, v37
	v_fmac_f16_e32 v20, 0xb8b4, v37
	v_fmac_f16_e32 v27, 0x38b4, v29
	v_fmac_f16_e32 v32, 0xb8b4, v38
	v_add_f16_e32 v43, v43, v73
	v_fmac_f16_e32 v51, 0xb8b4, v29
	v_fmac_f16_e32 v14, 0x38b4, v38
	v_add_f16_e32 v45, v75, v76
	v_add_f16_e32 v50, v83, v84
	;; [unrolled: 1-line block ×5, first 2 shown]
	v_fmac_f16_e32 v54, 0xb8b4, v47
	v_add_f16_e32 v16, v16, v18
	v_fmac_f16_e32 v17, 0x38b4, v56
	v_fmac_f16_e32 v58, 0x38b4, v55
	;; [unrolled: 1-line block ×5, first 2 shown]
	v_add_f16_e32 v48, v78, v79
	v_add_f16_e32 v19, v19, v86
	v_fmac_f16_e32 v57, 0xb8b4, v46
	v_fmac_f16_e32 v60, 0xb8b4, v63
	;; [unrolled: 1-line block ×16, first 2 shown]
	v_add_f16_e32 v18, v43, v74
	v_add_f16_e32 v23, v23, v25
	v_fmac_f16_e32 v51, 0x34f2, v30
	v_fmac_f16_e32 v14, 0x34f2, v33
	;; [unrolled: 1-line block ×8, first 2 shown]
	v_pack_b32_f16 v7, v26, v13
	v_pack_b32_f16 v12, v15, v16
	v_fmac_f16_e32 v57, 0x34f2, v39
	v_fmac_f16_e32 v60, 0x34f2, v48
	;; [unrolled: 1-line block ×10, first 2 shown]
	v_pack_b32_f16 v15, v52, v53
	v_pack_b32_f16 v6, v6, v20
	;; [unrolled: 1-line block ×5, first 2 shown]
	ds_store_2addr_b32 v1, v7, v12 offset1:68
	v_pack_b32_f16 v7, v54, v17
	v_pack_b32_f16 v18, v59, v24
	;; [unrolled: 1-line block ×8, first 2 shown]
	ds_store_2addr_b32 v10, v15, v6 offset0:24 offset1:228
	ds_store_b32 v1, v16 offset:3264
	ds_store_2addr_b32 v1, v13, v14 offset0:136 offset1:204
	ds_store_2addr_b32 v9, v7, v18 offset0:16 offset1:84
	;; [unrolled: 1-line block ×5, first 2 shown]
	global_wb scope:SCOPE_SE
	s_wait_dscnt 0x0
	s_barrier_signal -1
	s_barrier_wait -1
	global_inv scope:SCOPE_SE
	s_and_saveexec_b32 s0, vcc_lo
	s_cbranch_execz .LBB0_30
; %bb.29:
	v_dual_mov_b32 v1, 0 :: v_dual_add_nc_u32 v4, 0x44, v0
	v_add_co_u32 v31, vcc_lo, s8, v2
	s_wait_alu 0xfffd
	v_add_co_ci_u32_e32 v32, vcc_lo, s9, v3, vcc_lo
	s_delay_alu instid0(VALU_DEP_3) | instskip(SKIP_3) | instid1(VALU_DEP_4)
	v_dual_mov_b32 v5, v1 :: v_dual_add_nc_u32 v8, 0x88, v0
	v_lshlrev_b64_e32 v[2:3], 2, v[0:1]
	v_dual_mov_b32 v9, v1 :: v_dual_add_nc_u32 v12, 0xcc, v0
	v_lshl_add_u32 v30, v0, 2, v21
	v_lshlrev_b64_e32 v[4:5], 2, v[4:5]
	v_dual_mov_b32 v13, v1 :: v_dual_add_nc_u32 v14, 0x110, v0
	v_add_co_u32 v2, vcc_lo, v31, v2
	v_lshlrev_b64_e32 v[8:9], 2, v[8:9]
	v_dual_mov_b32 v15, v1 :: v_dual_add_nc_u32 v24, 0x400, v30
	s_wait_alu 0xfffd
	v_add_co_ci_u32_e32 v3, vcc_lo, v32, v3, vcc_lo
	ds_load_2addr_b32 v[6:7], v30 offset1:68
	v_add_co_u32 v4, vcc_lo, v31, v4
	v_lshlrev_b64_e32 v[12:13], 2, v[12:13]
	v_dual_mov_b32 v17, v1 :: v_dual_add_nc_u32 v16, 0x154, v0
	s_wait_alu 0xfffd
	v_add_co_ci_u32_e32 v5, vcc_lo, v32, v5, vcc_lo
	ds_load_2addr_b32 v[10:11], v30 offset0:136 offset1:204
	v_add_co_u32 v8, vcc_lo, v31, v8
	v_lshlrev_b64_e32 v[14:15], 2, v[14:15]
	ds_load_2addr_b32 v[18:19], v24 offset0:16 offset1:84
	v_dual_mov_b32 v21, v1 :: v_dual_add_nc_u32 v20, 0x198, v0
	s_wait_alu 0xfffd
	v_add_co_ci_u32_e32 v9, vcc_lo, v32, v9, vcc_lo
	v_add_co_u32 v12, vcc_lo, v31, v12
	v_lshlrev_b64_e32 v[16:17], 2, v[16:17]
	ds_load_2addr_b32 v[24:25], v24 offset0:152 offset1:220
	v_dual_mov_b32 v23, v1 :: v_dual_add_nc_u32 v22, 0x1dc, v0
	s_wait_alu 0xfffd
	v_add_co_ci_u32_e32 v13, vcc_lo, v32, v13, vcc_lo
	v_add_co_u32 v14, vcc_lo, v31, v14
	v_lshlrev_b64_e32 v[20:21], 2, v[20:21]
	s_wait_alu 0xfffd
	v_add_co_ci_u32_e32 v15, vcc_lo, v32, v15, vcc_lo
	v_add_co_u32 v16, vcc_lo, v31, v16
	v_lshlrev_b64_e32 v[22:23], 2, v[22:23]
	s_wait_alu 0xfffd
	v_add_co_ci_u32_e32 v17, vcc_lo, v32, v17, vcc_lo
	v_add_co_u32 v20, vcc_lo, v31, v20
	v_dual_mov_b32 v27, v1 :: v_dual_add_nc_u32 v26, 0x220, v0
	s_wait_alu 0xfffd
	v_add_co_ci_u32_e32 v21, vcc_lo, v32, v21, vcc_lo
	v_add_co_u32 v22, vcc_lo, v31, v22
	v_dual_mov_b32 v29, v1 :: v_dual_add_nc_u32 v28, 0x264, v0
	s_wait_alu 0xfffd
	v_add_co_ci_u32_e32 v23, vcc_lo, v32, v23, vcc_lo
	s_wait_dscnt 0x3
	s_clause 0x1
	global_store_b32 v[2:3], v6, off
	global_store_b32 v[4:5], v7, off
	s_wait_dscnt 0x2
	s_clause 0x1
	global_store_b32 v[8:9], v10, off
	global_store_b32 v[12:13], v11, off
	;; [unrolled: 4-line block ×4, first 2 shown]
	v_lshlrev_b64_e32 v[2:3], 2, v[26:27]
	v_add_nc_u32_e32 v33, 0x800, v30
	v_dual_mov_b32 v9, v1 :: v_dual_add_nc_u32 v8, 0x2a8, v0
	v_lshlrev_b64_e32 v[6:7], 2, v[28:29]
	v_dual_mov_b32 v13, v1 :: v_dual_add_nc_u32 v12, 0x2ec, v0
	v_dual_mov_b32 v17, v1 :: v_dual_add_nc_u32 v18, 0xc00, v30
	ds_load_2addr_b32 v[4:5], v33 offset0:32 offset1:100
	v_add_co_u32 v2, vcc_lo, v31, v2
	v_lshlrev_b64_e32 v[8:9], 2, v[8:9]
	v_dual_mov_b32 v15, v1 :: v_dual_add_nc_u32 v14, 0x330, v0
	s_wait_alu 0xfffd
	v_add_co_ci_u32_e32 v3, vcc_lo, v32, v3, vcc_lo
	ds_load_2addr_b32 v[10:11], v33 offset0:168 offset1:236
	v_add_co_u32 v6, vcc_lo, v31, v6
	v_lshlrev_b64_e32 v[12:13], 2, v[12:13]
	v_add_nc_u32_e32 v16, 0x374, v0
	ds_load_2addr_b32 v[18:19], v18 offset0:48 offset1:116
	s_wait_alu 0xfffd
	v_add_co_ci_u32_e32 v7, vcc_lo, v32, v7, vcc_lo
	v_add_co_u32 v8, vcc_lo, v31, v8
	v_lshlrev_b64_e32 v[14:15], 2, v[14:15]
	ds_load_b32 v20, v30 offset:3808
	v_add_nc_u32_e32 v0, 0x3b8, v0
	s_wait_alu 0xfffd
	v_add_co_ci_u32_e32 v9, vcc_lo, v32, v9, vcc_lo
	v_add_co_u32 v12, vcc_lo, v31, v12
	v_lshlrev_b64_e32 v[16:17], 2, v[16:17]
	s_wait_alu 0xfffd
	v_add_co_ci_u32_e32 v13, vcc_lo, v32, v13, vcc_lo
	v_add_co_u32 v14, vcc_lo, v31, v14
	v_lshlrev_b64_e32 v[0:1], 2, v[0:1]
	s_wait_alu 0xfffd
	v_add_co_ci_u32_e32 v15, vcc_lo, v32, v15, vcc_lo
	v_add_co_u32 v16, vcc_lo, v31, v16
	s_wait_alu 0xfffd
	v_add_co_ci_u32_e32 v17, vcc_lo, v32, v17, vcc_lo
	v_add_co_u32 v0, vcc_lo, v31, v0
	s_wait_alu 0xfffd
	v_add_co_ci_u32_e32 v1, vcc_lo, v32, v1, vcc_lo
	s_wait_dscnt 0x3
	s_clause 0x1
	global_store_b32 v[2:3], v4, off
	global_store_b32 v[6:7], v5, off
	s_wait_dscnt 0x2
	s_clause 0x1
	global_store_b32 v[8:9], v10, off
	global_store_b32 v[12:13], v11, off
	;; [unrolled: 4-line block ×3, first 2 shown]
	s_wait_dscnt 0x0
	global_store_b32 v[0:1], v20, off
.LBB0_30:
	s_nop 0
	s_sendmsg sendmsg(MSG_DEALLOC_VGPRS)
	s_endpgm
	.section	.rodata,"a",@progbits
	.p2align	6, 0x0
	.amdhsa_kernel fft_rtc_back_len1020_factors_2_17_2_3_5_wgs_204_tpt_68_halfLds_half_ip_CI_unitstride_sbrr_C2R_dirReg
		.amdhsa_group_segment_fixed_size 0
		.amdhsa_private_segment_fixed_size 0
		.amdhsa_kernarg_size 88
		.amdhsa_user_sgpr_count 2
		.amdhsa_user_sgpr_dispatch_ptr 0
		.amdhsa_user_sgpr_queue_ptr 0
		.amdhsa_user_sgpr_kernarg_segment_ptr 1
		.amdhsa_user_sgpr_dispatch_id 0
		.amdhsa_user_sgpr_private_segment_size 0
		.amdhsa_wavefront_size32 1
		.amdhsa_uses_dynamic_stack 0
		.amdhsa_enable_private_segment 0
		.amdhsa_system_sgpr_workgroup_id_x 1
		.amdhsa_system_sgpr_workgroup_id_y 0
		.amdhsa_system_sgpr_workgroup_id_z 0
		.amdhsa_system_sgpr_workgroup_info 0
		.amdhsa_system_vgpr_workitem_id 0
		.amdhsa_next_free_vgpr 208
		.amdhsa_next_free_sgpr 32
		.amdhsa_reserve_vcc 1
		.amdhsa_float_round_mode_32 0
		.amdhsa_float_round_mode_16_64 0
		.amdhsa_float_denorm_mode_32 3
		.amdhsa_float_denorm_mode_16_64 3
		.amdhsa_fp16_overflow 0
		.amdhsa_workgroup_processor_mode 1
		.amdhsa_memory_ordered 1
		.amdhsa_forward_progress 0
		.amdhsa_round_robin_scheduling 0
		.amdhsa_exception_fp_ieee_invalid_op 0
		.amdhsa_exception_fp_denorm_src 0
		.amdhsa_exception_fp_ieee_div_zero 0
		.amdhsa_exception_fp_ieee_overflow 0
		.amdhsa_exception_fp_ieee_underflow 0
		.amdhsa_exception_fp_ieee_inexact 0
		.amdhsa_exception_int_div_zero 0
	.end_amdhsa_kernel
	.text
.Lfunc_end0:
	.size	fft_rtc_back_len1020_factors_2_17_2_3_5_wgs_204_tpt_68_halfLds_half_ip_CI_unitstride_sbrr_C2R_dirReg, .Lfunc_end0-fft_rtc_back_len1020_factors_2_17_2_3_5_wgs_204_tpt_68_halfLds_half_ip_CI_unitstride_sbrr_C2R_dirReg
                                        ; -- End function
	.section	.AMDGPU.csdata,"",@progbits
; Kernel info:
; codeLenInByte = 16544
; NumSgprs: 34
; NumVgprs: 208
; ScratchSize: 0
; MemoryBound: 0
; FloatMode: 240
; IeeeMode: 1
; LDSByteSize: 0 bytes/workgroup (compile time only)
; SGPRBlocks: 4
; VGPRBlocks: 25
; NumSGPRsForWavesPerEU: 34
; NumVGPRsForWavesPerEU: 208
; Occupancy: 7
; WaveLimiterHint : 1
; COMPUTE_PGM_RSRC2:SCRATCH_EN: 0
; COMPUTE_PGM_RSRC2:USER_SGPR: 2
; COMPUTE_PGM_RSRC2:TRAP_HANDLER: 0
; COMPUTE_PGM_RSRC2:TGID_X_EN: 1
; COMPUTE_PGM_RSRC2:TGID_Y_EN: 0
; COMPUTE_PGM_RSRC2:TGID_Z_EN: 0
; COMPUTE_PGM_RSRC2:TIDIG_COMP_CNT: 0
	.text
	.p2alignl 7, 3214868480
	.fill 96, 4, 3214868480
	.type	__hip_cuid_d24176f4ede0ed57,@object ; @__hip_cuid_d24176f4ede0ed57
	.section	.bss,"aw",@nobits
	.globl	__hip_cuid_d24176f4ede0ed57
__hip_cuid_d24176f4ede0ed57:
	.byte	0                               ; 0x0
	.size	__hip_cuid_d24176f4ede0ed57, 1

	.ident	"AMD clang version 19.0.0git (https://github.com/RadeonOpenCompute/llvm-project roc-6.4.0 25133 c7fe45cf4b819c5991fe208aaa96edf142730f1d)"
	.section	".note.GNU-stack","",@progbits
	.addrsig
	.addrsig_sym __hip_cuid_d24176f4ede0ed57
	.amdgpu_metadata
---
amdhsa.kernels:
  - .args:
      - .actual_access:  read_only
        .address_space:  global
        .offset:         0
        .size:           8
        .value_kind:     global_buffer
      - .offset:         8
        .size:           8
        .value_kind:     by_value
      - .actual_access:  read_only
        .address_space:  global
        .offset:         16
        .size:           8
        .value_kind:     global_buffer
      - .actual_access:  read_only
        .address_space:  global
        .offset:         24
        .size:           8
        .value_kind:     global_buffer
      - .offset:         32
        .size:           8
        .value_kind:     by_value
      - .actual_access:  read_only
        .address_space:  global
        .offset:         40
        .size:           8
        .value_kind:     global_buffer
      - .actual_access:  read_only
        .address_space:  global
        .offset:         48
        .size:           8
        .value_kind:     global_buffer
      - .offset:         56
        .size:           4
        .value_kind:     by_value
      - .actual_access:  read_only
        .address_space:  global
        .offset:         64
        .size:           8
        .value_kind:     global_buffer
      - .actual_access:  read_only
        .address_space:  global
        .offset:         72
        .size:           8
        .value_kind:     global_buffer
      - .address_space:  global
        .offset:         80
        .size:           8
        .value_kind:     global_buffer
    .group_segment_fixed_size: 0
    .kernarg_segment_align: 8
    .kernarg_segment_size: 88
    .language:       OpenCL C
    .language_version:
      - 2
      - 0
    .max_flat_workgroup_size: 204
    .name:           fft_rtc_back_len1020_factors_2_17_2_3_5_wgs_204_tpt_68_halfLds_half_ip_CI_unitstride_sbrr_C2R_dirReg
    .private_segment_fixed_size: 0
    .sgpr_count:     34
    .sgpr_spill_count: 0
    .symbol:         fft_rtc_back_len1020_factors_2_17_2_3_5_wgs_204_tpt_68_halfLds_half_ip_CI_unitstride_sbrr_C2R_dirReg.kd
    .uniform_work_group_size: 1
    .uses_dynamic_stack: false
    .vgpr_count:     208
    .vgpr_spill_count: 0
    .wavefront_size: 32
    .workgroup_processor_mode: 1
amdhsa.target:   amdgcn-amd-amdhsa--gfx1201
amdhsa.version:
  - 1
  - 2
...

	.end_amdgpu_metadata
